;; amdgpu-corpus repo=ROCm/rocFFT kind=compiled arch=gfx906 opt=O3
	.text
	.amdgcn_target "amdgcn-amd-amdhsa--gfx906"
	.amdhsa_code_object_version 6
	.protected	fft_rtc_fwd_len816_factors_17_2_3_2_2_2_wgs_51_tpt_51_halfLds_dp_op_CI_CI_sbrr_dirReg ; -- Begin function fft_rtc_fwd_len816_factors_17_2_3_2_2_2_wgs_51_tpt_51_halfLds_dp_op_CI_CI_sbrr_dirReg
	.globl	fft_rtc_fwd_len816_factors_17_2_3_2_2_2_wgs_51_tpt_51_halfLds_dp_op_CI_CI_sbrr_dirReg
	.p2align	8
	.type	fft_rtc_fwd_len816_factors_17_2_3_2_2_2_wgs_51_tpt_51_halfLds_dp_op_CI_CI_sbrr_dirReg,@function
fft_rtc_fwd_len816_factors_17_2_3_2_2_2_wgs_51_tpt_51_halfLds_dp_op_CI_CI_sbrr_dirReg: ; @fft_rtc_fwd_len816_factors_17_2_3_2_2_2_wgs_51_tpt_51_halfLds_dp_op_CI_CI_sbrr_dirReg
; %bb.0:
	s_load_dwordx4 s[16:19], s[4:5], 0x18
	s_load_dwordx4 s[12:15], s[4:5], 0x0
	;; [unrolled: 1-line block ×3, first 2 shown]
	v_mul_u32_u24_e32 v1, 0x506, v0
	v_add_u32_sdwa v6, s6, v1 dst_sel:DWORD dst_unused:UNUSED_PAD src0_sel:DWORD src1_sel:WORD_1
	s_waitcnt lgkmcnt(0)
	s_load_dwordx2 s[22:23], s[16:17], 0x0
	s_load_dwordx2 s[20:21], s[18:19], 0x0
	v_cmp_lt_u64_e64 s[0:1], s[14:15], 2
	v_mov_b32_e32 v1, 0
	v_mov_b32_e32 v4, 0
	;; [unrolled: 1-line block ×3, first 2 shown]
	s_and_b64 vcc, exec, s[0:1]
	v_mov_b32_e32 v5, 0
	s_cbranch_vccnz .LBB0_8
; %bb.1:
	s_load_dwordx2 s[0:1], s[4:5], 0x10
	s_add_u32 s2, s18, 8
	s_addc_u32 s3, s19, 0
	s_add_u32 s6, s16, 8
	v_mov_b32_e32 v4, 0
	s_addc_u32 s7, s17, 0
	v_mov_b32_e32 v5, 0
	s_waitcnt lgkmcnt(0)
	s_add_u32 s24, s0, 8
	v_mov_b32_e32 v125, v5
	s_addc_u32 s25, s1, 0
	s_mov_b64 s[26:27], 1
	v_mov_b32_e32 v124, v4
.LBB0_2:                                ; =>This Inner Loop Header: Depth=1
	s_load_dwordx2 s[28:29], s[24:25], 0x0
                                        ; implicit-def: $vgpr128_vgpr129
	s_waitcnt lgkmcnt(0)
	v_or_b32_e32 v2, s29, v7
	v_cmp_ne_u64_e32 vcc, 0, v[1:2]
	s_and_saveexec_b64 s[0:1], vcc
	s_xor_b64 s[30:31], exec, s[0:1]
	s_cbranch_execz .LBB0_4
; %bb.3:                                ;   in Loop: Header=BB0_2 Depth=1
	v_cvt_f32_u32_e32 v2, s28
	v_cvt_f32_u32_e32 v3, s29
	s_sub_u32 s0, 0, s28
	s_subb_u32 s1, 0, s29
	v_mac_f32_e32 v2, 0x4f800000, v3
	v_rcp_f32_e32 v2, v2
	v_mul_f32_e32 v2, 0x5f7ffffc, v2
	v_mul_f32_e32 v3, 0x2f800000, v2
	v_trunc_f32_e32 v3, v3
	v_mac_f32_e32 v2, 0xcf800000, v3
	v_cvt_u32_f32_e32 v3, v3
	v_cvt_u32_f32_e32 v2, v2
	v_mul_lo_u32 v8, s0, v3
	v_mul_hi_u32 v9, s0, v2
	v_mul_lo_u32 v11, s1, v2
	v_mul_lo_u32 v10, s0, v2
	v_add_u32_e32 v8, v9, v8
	v_add_u32_e32 v8, v8, v11
	v_mul_hi_u32 v9, v2, v10
	v_mul_lo_u32 v11, v2, v8
	v_mul_hi_u32 v13, v2, v8
	v_mul_hi_u32 v12, v3, v10
	v_mul_lo_u32 v10, v3, v10
	v_mul_hi_u32 v14, v3, v8
	v_add_co_u32_e32 v9, vcc, v9, v11
	v_addc_co_u32_e32 v11, vcc, 0, v13, vcc
	v_mul_lo_u32 v8, v3, v8
	v_add_co_u32_e32 v9, vcc, v9, v10
	v_addc_co_u32_e32 v9, vcc, v11, v12, vcc
	v_addc_co_u32_e32 v10, vcc, 0, v14, vcc
	v_add_co_u32_e32 v8, vcc, v9, v8
	v_addc_co_u32_e32 v9, vcc, 0, v10, vcc
	v_add_co_u32_e32 v2, vcc, v2, v8
	v_addc_co_u32_e32 v3, vcc, v3, v9, vcc
	v_mul_lo_u32 v8, s0, v3
	v_mul_hi_u32 v9, s0, v2
	v_mul_lo_u32 v10, s1, v2
	v_mul_lo_u32 v11, s0, v2
	v_add_u32_e32 v8, v9, v8
	v_add_u32_e32 v8, v8, v10
	v_mul_lo_u32 v12, v2, v8
	v_mul_hi_u32 v13, v2, v11
	v_mul_hi_u32 v14, v2, v8
	;; [unrolled: 1-line block ×3, first 2 shown]
	v_mul_lo_u32 v11, v3, v11
	v_mul_hi_u32 v9, v3, v8
	v_add_co_u32_e32 v12, vcc, v13, v12
	v_addc_co_u32_e32 v13, vcc, 0, v14, vcc
	v_mul_lo_u32 v8, v3, v8
	v_add_co_u32_e32 v11, vcc, v12, v11
	v_addc_co_u32_e32 v10, vcc, v13, v10, vcc
	v_addc_co_u32_e32 v9, vcc, 0, v9, vcc
	v_add_co_u32_e32 v8, vcc, v10, v8
	v_addc_co_u32_e32 v9, vcc, 0, v9, vcc
	v_add_co_u32_e32 v8, vcc, v2, v8
	v_addc_co_u32_e32 v9, vcc, v3, v9, vcc
	v_mad_u64_u32 v[2:3], s[0:1], v6, v9, 0
	v_mul_hi_u32 v10, v6, v8
	v_add_co_u32_e32 v10, vcc, v10, v2
	v_addc_co_u32_e32 v11, vcc, 0, v3, vcc
	v_mad_u64_u32 v[2:3], s[0:1], v7, v8, 0
	v_mad_u64_u32 v[8:9], s[0:1], v7, v9, 0
	v_add_co_u32_e32 v2, vcc, v10, v2
	v_addc_co_u32_e32 v2, vcc, v11, v3, vcc
	v_addc_co_u32_e32 v3, vcc, 0, v9, vcc
	v_add_co_u32_e32 v8, vcc, v2, v8
	v_addc_co_u32_e32 v9, vcc, 0, v3, vcc
	v_mul_lo_u32 v10, s29, v8
	v_mul_lo_u32 v11, s28, v9
	v_mad_u64_u32 v[2:3], s[0:1], s28, v8, 0
	v_add3_u32 v3, v3, v11, v10
	v_sub_u32_e32 v10, v7, v3
	v_mov_b32_e32 v11, s29
	v_sub_co_u32_e32 v2, vcc, v6, v2
	v_subb_co_u32_e64 v10, s[0:1], v10, v11, vcc
	v_subrev_co_u32_e64 v11, s[0:1], s28, v2
	v_subbrev_co_u32_e64 v10, s[0:1], 0, v10, s[0:1]
	v_cmp_le_u32_e64 s[0:1], s29, v10
	v_cndmask_b32_e64 v12, 0, -1, s[0:1]
	v_cmp_le_u32_e64 s[0:1], s28, v11
	v_cndmask_b32_e64 v11, 0, -1, s[0:1]
	v_cmp_eq_u32_e64 s[0:1], s29, v10
	v_cndmask_b32_e64 v10, v12, v11, s[0:1]
	v_add_co_u32_e64 v11, s[0:1], 2, v8
	v_addc_co_u32_e64 v12, s[0:1], 0, v9, s[0:1]
	v_add_co_u32_e64 v13, s[0:1], 1, v8
	v_addc_co_u32_e64 v14, s[0:1], 0, v9, s[0:1]
	v_subb_co_u32_e32 v3, vcc, v7, v3, vcc
	v_cmp_ne_u32_e64 s[0:1], 0, v10
	v_cmp_le_u32_e32 vcc, s29, v3
	v_cndmask_b32_e64 v10, v14, v12, s[0:1]
	v_cndmask_b32_e64 v12, 0, -1, vcc
	v_cmp_le_u32_e32 vcc, s28, v2
	v_cndmask_b32_e64 v2, 0, -1, vcc
	v_cmp_eq_u32_e32 vcc, s29, v3
	v_cndmask_b32_e32 v2, v12, v2, vcc
	v_cmp_ne_u32_e32 vcc, 0, v2
	v_cndmask_b32_e64 v2, v13, v11, s[0:1]
	v_cndmask_b32_e32 v129, v9, v10, vcc
	v_cndmask_b32_e32 v128, v8, v2, vcc
.LBB0_4:                                ;   in Loop: Header=BB0_2 Depth=1
	s_andn2_saveexec_b64 s[0:1], s[30:31]
	s_cbranch_execz .LBB0_6
; %bb.5:                                ;   in Loop: Header=BB0_2 Depth=1
	v_cvt_f32_u32_e32 v2, s28
	s_sub_i32 s30, 0, s28
	v_mov_b32_e32 v129, v1
	v_rcp_iflag_f32_e32 v2, v2
	v_mul_f32_e32 v2, 0x4f7ffffe, v2
	v_cvt_u32_f32_e32 v2, v2
	v_mul_lo_u32 v3, s30, v2
	v_mul_hi_u32 v3, v2, v3
	v_add_u32_e32 v2, v2, v3
	v_mul_hi_u32 v2, v6, v2
	v_mul_lo_u32 v3, v2, s28
	v_add_u32_e32 v8, 1, v2
	v_sub_u32_e32 v3, v6, v3
	v_subrev_u32_e32 v9, s28, v3
	v_cmp_le_u32_e32 vcc, s28, v3
	v_cndmask_b32_e32 v3, v3, v9, vcc
	v_cndmask_b32_e32 v2, v2, v8, vcc
	v_add_u32_e32 v8, 1, v2
	v_cmp_le_u32_e32 vcc, s28, v3
	v_cndmask_b32_e32 v128, v2, v8, vcc
.LBB0_6:                                ;   in Loop: Header=BB0_2 Depth=1
	s_or_b64 exec, exec, s[0:1]
	v_mul_lo_u32 v8, v129, s28
	v_mul_lo_u32 v9, v128, s29
	v_mad_u64_u32 v[2:3], s[0:1], v128, s28, 0
	s_load_dwordx2 s[0:1], s[6:7], 0x0
	s_load_dwordx2 s[28:29], s[2:3], 0x0
	v_add3_u32 v3, v3, v9, v8
	v_sub_co_u32_e32 v2, vcc, v6, v2
	v_subb_co_u32_e32 v3, vcc, v7, v3, vcc
	s_waitcnt lgkmcnt(0)
	v_mul_lo_u32 v6, s0, v3
	v_mul_lo_u32 v7, s1, v2
	v_mad_u64_u32 v[4:5], s[0:1], s0, v2, v[4:5]
	v_mul_lo_u32 v3, s28, v3
	v_mul_lo_u32 v8, s29, v2
	v_mad_u64_u32 v[124:125], s[0:1], s28, v2, v[124:125]
	s_add_u32 s26, s26, 1
	s_addc_u32 s27, s27, 0
	s_add_u32 s2, s2, 8
	v_add3_u32 v125, v8, v125, v3
	s_addc_u32 s3, s3, 0
	v_mov_b32_e32 v2, s14
	s_add_u32 s6, s6, 8
	v_mov_b32_e32 v3, s15
	s_addc_u32 s7, s7, 0
	v_cmp_ge_u64_e32 vcc, s[26:27], v[2:3]
	s_add_u32 s24, s24, 8
	v_add3_u32 v5, v7, v5, v6
	s_addc_u32 s25, s25, 0
	s_cbranch_vccnz .LBB0_9
; %bb.7:                                ;   in Loop: Header=BB0_2 Depth=1
	v_mov_b32_e32 v6, v128
	v_mov_b32_e32 v7, v129
	s_branch .LBB0_2
.LBB0_8:
	v_mov_b32_e32 v125, v5
	v_mov_b32_e32 v129, v7
	;; [unrolled: 1-line block ×4, first 2 shown]
.LBB0_9:
	s_load_dwordx2 s[0:1], s[4:5], 0x28
	s_mov_b32 s4, 0x5050506
	v_mul_hi_u32 v1, v0, s4
	s_lshl_b64 s[2:3], s[14:15], 3
	s_add_u32 s4, s18, s2
	s_waitcnt lgkmcnt(0)
	v_cmp_gt_u64_e32 vcc, s[0:1], v[128:129]
	v_mul_u32_u24_e32 v1, 51, v1
	v_sub_u32_e32 v126, v0, v1
	v_cmp_gt_u32_e64 s[0:1], 48, v126
	s_addc_u32 s5, s19, s3
	s_and_b64 s[14:15], vcc, s[0:1]
                                        ; implicit-def: $vgpr2_vgpr3
                                        ; implicit-def: $vgpr10_vgpr11
                                        ; implicit-def: $vgpr6_vgpr7
                                        ; implicit-def: $vgpr18_vgpr19
                                        ; implicit-def: $vgpr22_vgpr23
                                        ; implicit-def: $vgpr26_vgpr27
                                        ; implicit-def: $vgpr30_vgpr31
                                        ; implicit-def: $vgpr34_vgpr35
                                        ; implicit-def: $vgpr38_vgpr39
                                        ; implicit-def: $vgpr42_vgpr43
                                        ; implicit-def: $vgpr46_vgpr47
                                        ; implicit-def: $vgpr50_vgpr51
                                        ; implicit-def: $vgpr54_vgpr55
                                        ; implicit-def: $vgpr58_vgpr59
                                        ; implicit-def: $vgpr62_vgpr63
                                        ; implicit-def: $vgpr66_vgpr67
                                        ; implicit-def: $vgpr14_vgpr15
	s_and_saveexec_b64 s[6:7], s[14:15]
	s_cbranch_execz .LBB0_11
; %bb.10:
	s_add_u32 s2, s16, s2
	s_addc_u32 s3, s17, s3
	s_load_dwordx2 s[2:3], s[2:3], 0x0
	v_mad_u64_u32 v[0:1], s[14:15], s22, v126, 0
	v_add_u32_e32 v10, 0x90, v126
	s_waitcnt lgkmcnt(0)
	v_mul_lo_u32 v8, s3, v128
	v_mul_lo_u32 v9, s2, v129
	v_mad_u64_u32 v[2:3], s[2:3], s2, v128, 0
	v_mad_u64_u32 v[6:7], s[2:3], s23, v126, v[1:2]
	v_add3_u32 v3, v3, v9, v8
	v_lshlrev_b64 v[2:3], 4, v[2:3]
	v_mov_b32_e32 v1, v6
	v_mov_b32_e32 v6, s9
	v_add_co_u32_e64 v7, s[2:3], s8, v2
	v_add_u32_e32 v8, 48, v126
	v_addc_co_u32_e64 v6, s[2:3], v6, v3, s[2:3]
	v_lshlrev_b64 v[2:3], 4, v[4:5]
	v_mad_u64_u32 v[4:5], s[2:3], s22, v8, 0
	v_add_co_u32_e64 v12, s[2:3], v7, v2
	v_mov_b32_e32 v2, v5
	v_addc_co_u32_e64 v13, s[2:3], v6, v3, s[2:3]
	v_mad_u64_u32 v[2:3], s[2:3], s23, v8, v[2:3]
	v_add_u32_e32 v8, 0x60, v126
	v_mad_u64_u32 v[6:7], s[2:3], s22, v8, 0
	v_lshlrev_b64 v[0:1], 4, v[0:1]
	v_mov_b32_e32 v5, v2
	v_add_co_u32_e64 v0, s[2:3], v12, v0
	v_lshlrev_b64 v[2:3], 4, v[4:5]
	v_mov_b32_e32 v4, v7
	v_addc_co_u32_e64 v1, s[2:3], v13, v1, s[2:3]
	v_mad_u64_u32 v[4:5], s[2:3], s23, v8, v[4:5]
	v_mad_u64_u32 v[8:9], s[2:3], s22, v10, 0
	v_mov_b32_e32 v7, v4
	v_add_co_u32_e64 v2, s[2:3], v12, v2
	v_lshlrev_b64 v[4:5], 4, v[6:7]
	v_mov_b32_e32 v6, v9
	v_addc_co_u32_e64 v3, s[2:3], v13, v3, s[2:3]
	v_mad_u64_u32 v[6:7], s[2:3], s23, v10, v[6:7]
	v_or_b32_e32 v7, 0xc0, v126
	v_mad_u64_u32 v[10:11], s[2:3], s22, v7, 0
	v_add_co_u32_e64 v68, s[2:3], v12, v4
	v_mov_b32_e32 v9, v6
	v_mov_b32_e32 v6, v11
	v_addc_co_u32_e64 v69, s[2:3], v13, v5, s[2:3]
	v_lshlrev_b64 v[4:5], 4, v[8:9]
	v_mad_u64_u32 v[6:7], s[2:3], s23, v7, v[6:7]
	v_add_u32_e32 v9, 0xf0, v126
	v_mad_u64_u32 v[7:8], s[2:3], s22, v9, 0
	v_add_co_u32_e64 v70, s[2:3], v12, v4
	v_mov_b32_e32 v11, v6
	v_mov_b32_e32 v6, v8
	v_addc_co_u32_e64 v71, s[2:3], v13, v5, s[2:3]
	v_lshlrev_b64 v[4:5], 4, v[10:11]
	v_mad_u64_u32 v[8:9], s[2:3], s23, v9, v[6:7]
	v_add_u32_e32 v11, 0x120, v126
	v_mad_u64_u32 v[9:10], s[2:3], s22, v11, 0
	v_add_co_u32_e64 v72, s[2:3], v12, v4
	v_mov_b32_e32 v6, v10
	v_addc_co_u32_e64 v73, s[2:3], v13, v5, s[2:3]
	v_lshlrev_b64 v[4:5], 4, v[7:8]
	v_mad_u64_u32 v[6:7], s[2:3], s23, v11, v[6:7]
	v_add_u32_e32 v11, 0x150, v126
	v_mad_u64_u32 v[7:8], s[2:3], s22, v11, 0
	v_add_co_u32_e64 v74, s[2:3], v12, v4
	v_mov_b32_e32 v10, v6
	v_mov_b32_e32 v6, v8
	v_addc_co_u32_e64 v75, s[2:3], v13, v5, s[2:3]
	v_lshlrev_b64 v[4:5], 4, v[9:10]
	v_mad_u64_u32 v[8:9], s[2:3], s23, v11, v[6:7]
	v_or_b32_e32 v11, 0x180, v126
	v_mad_u64_u32 v[9:10], s[2:3], s22, v11, 0
	v_add_co_u32_e64 v76, s[2:3], v12, v4
	v_mov_b32_e32 v6, v10
	v_addc_co_u32_e64 v77, s[2:3], v13, v5, s[2:3]
	v_lshlrev_b64 v[4:5], 4, v[7:8]
	v_mad_u64_u32 v[6:7], s[2:3], s23, v11, v[6:7]
	v_add_u32_e32 v11, 0x1b0, v126
	v_mad_u64_u32 v[7:8], s[2:3], s22, v11, 0
	v_add_co_u32_e64 v78, s[2:3], v12, v4
	v_mov_b32_e32 v10, v6
	v_mov_b32_e32 v6, v8
	v_addc_co_u32_e64 v79, s[2:3], v13, v5, s[2:3]
	v_lshlrev_b64 v[4:5], 4, v[9:10]
	v_mad_u64_u32 v[8:9], s[2:3], s23, v11, v[6:7]
	v_add_u32_e32 v11, 0x1e0, v126
	v_mad_u64_u32 v[9:10], s[2:3], s22, v11, 0
	v_add_co_u32_e64 v80, s[2:3], v12, v4
	v_mov_b32_e32 v6, v10
	v_addc_co_u32_e64 v81, s[2:3], v13, v5, s[2:3]
	v_lshlrev_b64 v[4:5], 4, v[7:8]
	v_mad_u64_u32 v[6:7], s[2:3], s23, v11, v[6:7]
	v_add_u32_e32 v11, 0x210, v126
	v_mad_u64_u32 v[7:8], s[2:3], s22, v11, 0
	v_add_co_u32_e64 v82, s[2:3], v12, v4
	v_mov_b32_e32 v10, v6
	v_mov_b32_e32 v6, v8
	v_addc_co_u32_e64 v83, s[2:3], v13, v5, s[2:3]
	v_lshlrev_b64 v[4:5], 4, v[9:10]
	v_mad_u64_u32 v[8:9], s[2:3], s23, v11, v[6:7]
	v_or_b32_e32 v11, 0x240, v126
	v_mad_u64_u32 v[9:10], s[2:3], s22, v11, 0
	v_add_co_u32_e64 v84, s[2:3], v12, v4
	v_mov_b32_e32 v6, v10
	v_addc_co_u32_e64 v85, s[2:3], v13, v5, s[2:3]
	v_lshlrev_b64 v[4:5], 4, v[7:8]
	v_mad_u64_u32 v[6:7], s[2:3], s23, v11, v[6:7]
	v_add_u32_e32 v11, 0x270, v126
	v_mad_u64_u32 v[7:8], s[2:3], s22, v11, 0
	v_add_co_u32_e64 v86, s[2:3], v12, v4
	v_mov_b32_e32 v10, v6
	v_mov_b32_e32 v6, v8
	v_addc_co_u32_e64 v87, s[2:3], v13, v5, s[2:3]
	v_lshlrev_b64 v[4:5], 4, v[9:10]
	v_mad_u64_u32 v[8:9], s[2:3], s23, v11, v[6:7]
	v_add_u32_e32 v11, 0x2a0, v126
	v_mad_u64_u32 v[9:10], s[2:3], s22, v11, 0
	v_add_co_u32_e64 v88, s[2:3], v12, v4
	v_mov_b32_e32 v6, v10
	v_addc_co_u32_e64 v89, s[2:3], v13, v5, s[2:3]
	v_lshlrev_b64 v[4:5], 4, v[7:8]
	v_mad_u64_u32 v[6:7], s[2:3], s23, v11, v[6:7]
	v_add_u32_e32 v11, 0x2d0, v126
	v_mad_u64_u32 v[7:8], s[2:3], s22, v11, 0
	v_add_co_u32_e64 v90, s[2:3], v12, v4
	v_mov_b32_e32 v10, v6
	v_mov_b32_e32 v6, v8
	v_addc_co_u32_e64 v91, s[2:3], v13, v5, s[2:3]
	v_lshlrev_b64 v[4:5], 4, v[9:10]
	v_mad_u64_u32 v[8:9], s[2:3], s23, v11, v[6:7]
	v_or_b32_e32 v11, 0x300, v126
	v_mad_u64_u32 v[9:10], s[2:3], s22, v11, 0
	v_add_co_u32_e64 v92, s[2:3], v12, v4
	v_mov_b32_e32 v6, v10
	v_addc_co_u32_e64 v93, s[2:3], v13, v5, s[2:3]
	v_lshlrev_b64 v[4:5], 4, v[7:8]
	v_mad_u64_u32 v[6:7], s[2:3], s23, v11, v[6:7]
	v_add_co_u32_e64 v94, s[2:3], v12, v4
	v_mov_b32_e32 v10, v6
	v_addc_co_u32_e64 v95, s[2:3], v13, v5, s[2:3]
	v_lshlrev_b64 v[4:5], 4, v[9:10]
	v_add_co_u32_e64 v96, s[2:3], v12, v4
	v_addc_co_u32_e64 v97, s[2:3], v13, v5, s[2:3]
	global_load_dwordx4 v[12:15], v[0:1], off
	global_load_dwordx4 v[64:67], v[2:3], off
	;; [unrolled: 1-line block ×15, first 2 shown]
                                        ; kill: killed $vgpr92 killed $vgpr93
                                        ; kill: killed $vgpr76 killed $vgpr77
                                        ; kill: killed $vgpr78 killed $vgpr79
                                        ; kill: killed $vgpr80 killed $vgpr81
                                        ; kill: killed $vgpr0 killed $vgpr1
                                        ; kill: killed $vgpr82 killed $vgpr83
                                        ; kill: killed $vgpr2 killed $vgpr3
                                        ; kill: killed $vgpr84 killed $vgpr85
                                        ; kill: killed $vgpr68 killed $vgpr69
                                        ; kill: killed $vgpr86 killed $vgpr87
                                        ; kill: killed $vgpr70 killed $vgpr71
                                        ; kill: killed $vgpr88 killed $vgpr89
                                        ; kill: killed $vgpr72 killed $vgpr73
                                        ; kill: killed $vgpr90 killed $vgpr91
                                        ; kill: killed $vgpr74 killed $vgpr75
	global_load_dwordx4 v[8:11], v[94:95], off
	global_load_dwordx4 v[0:3], v[96:97], off
.LBB0_11:
	s_or_b64 exec, exec, s[6:7]
	s_waitcnt vmcnt(0)
	v_add_f64 v[68:69], v[0:1], v[64:65]
	s_mov_b32 s2, 0x370991
	s_mov_b32 s3, 0x3fedd6d0
	v_add_f64 v[70:71], v[66:67], -v[2:3]
	v_add_f64 v[72:73], v[8:9], v[60:61]
	s_mov_b32 s22, 0x5d8e7cdc
	s_mov_b32 s6, 0x75d4884
	;; [unrolled: 1-line block ×3, first 2 shown]
	v_mul_f64 v[74:75], v[68:69], s[2:3]
	s_mov_b32 s7, 0x3fe7a5f6
	v_add_f64 v[76:77], v[62:63], -v[10:11]
	v_add_f64 v[78:79], v[4:5], v[56:57]
	v_mul_f64 v[80:81], v[72:73], s[6:7]
	s_mov_b32 s26, 0x2a9d6da3
	s_mov_b32 s8, 0x2b2883cd
	;; [unrolled: 1-line block ×3, first 2 shown]
	v_fma_f64 v[88:89], v[70:71], s[22:23], v[74:75]
	s_mov_b32 s9, 0x3fdc86fa
	v_add_f64 v[82:83], v[58:59], -v[6:7]
	v_add_f64 v[84:85], v[16:17], v[52:53]
	v_mul_f64 v[86:87], v[78:79], s[8:9]
	v_fma_f64 v[94:95], v[76:77], s[26:27], v[80:81]
	s_mov_b32 s28, 0x7c9e640b
	s_mov_b32 s14, 0x3259b75e
	v_add_f64 v[96:97], v[12:13], v[88:89]
	s_mov_b32 s29, 0xbfeca52d
	s_mov_b32 s15, 0x3fb79ee6
	v_add_f64 v[88:89], v[54:55], -v[18:19]
	v_add_f64 v[90:91], v[20:21], v[48:49]
	v_mul_f64 v[92:93], v[84:85], s[14:15]
	v_fma_f64 v[100:101], v[82:83], s[28:29], v[86:87]
	s_mov_b32 s34, 0xeb564b22
	v_add_f64 v[96:97], v[94:95], v[96:97]
	s_mov_b32 s16, 0xc61f0d01
	s_mov_b32 s35, 0xbfefdd0d
	;; [unrolled: 1-line block ×3, first 2 shown]
	v_add_f64 v[94:95], v[24:25], v[44:45]
	v_add_f64 v[104:105], v[50:51], -v[22:23]
	v_mul_f64 v[98:99], v[90:91], s[16:17]
	v_fma_f64 v[106:107], v[88:89], s[34:35], v[92:93]
	v_add_f64 v[108:109], v[100:101], v[96:97]
	s_mov_b32 s18, 0x6ed5f1bb
	s_mov_b32 s36, 0x923c349f
	;; [unrolled: 1-line block ×4, first 2 shown]
	v_add_f64 v[100:101], v[46:47], -v[26:27]
	v_mul_f64 v[96:97], v[94:95], s[18:19]
	v_add_f64 v[102:103], v[28:29], v[40:41]
	v_add_f64 v[106:107], v[106:107], v[108:109]
	v_fma_f64 v[112:113], v[104:105], s[36:37], v[98:99]
	s_mov_b32 s38, 0x6c9a05f6
	s_mov_b32 s24, 0x910ea3b9
	;; [unrolled: 1-line block ×4, first 2 shown]
	v_fma_f64 v[114:115], v[100:101], s[38:39], v[96:97]
	v_add_f64 v[110:111], v[42:43], -v[30:31]
	v_mul_f64 v[108:109], v[102:103], s[24:25]
	v_add_f64 v[112:113], v[112:113], v[106:107]
	v_add_f64 v[106:107], v[32:33], v[36:37]
	s_mov_b32 s40, 0x4363dd80
	s_mov_b32 s30, 0x7faef3
	;; [unrolled: 1-line block ×5, first 2 shown]
	v_fma_f64 v[116:117], v[110:111], s[40:41], v[108:109]
	v_add_f64 v[118:119], v[114:115], v[112:113]
	v_add_f64 v[114:115], v[38:39], -v[34:35]
	v_mul_f64 v[112:113], v[106:107], s[30:31]
	s_mov_b32 s43, 0xbfc7851a
	v_add_f64 v[116:117], v[116:117], v[118:119]
	v_fma_f64 v[118:119], v[114:115], s[42:43], v[112:113]
	v_add_f64 v[130:131], v[118:119], v[116:117]
	s_and_saveexec_b64 s[44:45], s[0:1]
	s_cbranch_execz .LBB0_13
; %bb.12:
	v_mul_f64 v[116:117], v[70:71], s[42:43]
	v_mul_f64 v[118:119], v[70:71], s[40:41]
	s_mov_b32 s47, 0x3fd71e95
	s_mov_b32 s46, s22
	;; [unrolled: 1-line block ×4, first 2 shown]
	v_mul_f64 v[120:121], v[76:77], s[46:47]
	v_mul_f64 v[134:135], v[76:77], s[48:49]
	v_fma_f64 v[132:133], v[68:69], s[30:31], v[116:117]
	v_fma_f64 v[116:117], v[68:69], s[30:31], -v[116:117]
	v_fma_f64 v[136:137], v[68:69], s[24:25], v[118:119]
	v_mul_f64 v[122:123], v[82:83], s[40:41]
	v_mul_f64 v[138:139], v[82:83], s[34:35]
	s_mov_b32 s51, 0x3fe58eea
	v_fma_f64 v[140:141], v[72:73], s[2:3], v[120:121]
	v_fma_f64 v[120:121], v[72:73], s[2:3], -v[120:121]
	v_add_f64 v[132:133], v[12:13], v[132:133]
	v_fma_f64 v[142:143], v[72:73], s[8:9], v[134:135]
	v_add_f64 v[116:117], v[12:13], v[116:117]
	v_add_f64 v[136:137], v[12:13], v[136:137]
	s_mov_b32 s50, s26
	s_mov_b32 s53, 0x3fe9895b
	;; [unrolled: 1-line block ×3, first 2 shown]
	v_mul_f64 v[144:145], v[88:89], s[50:51]
	v_fma_f64 v[146:147], v[78:79], s[24:25], v[122:123]
	v_fma_f64 v[122:123], v[78:79], s[24:25], -v[122:123]
	v_add_f64 v[132:133], v[140:141], v[132:133]
	v_fma_f64 v[140:141], v[78:79], s[14:15], v[138:139]
	v_add_f64 v[116:117], v[120:121], v[116:117]
	v_add_f64 v[120:121], v[142:143], v[136:137]
	v_mul_f64 v[142:143], v[88:89], s[52:53]
	v_mul_f64 v[136:137], v[104:105], s[38:39]
	v_fma_f64 v[118:119], v[68:69], s[24:25], -v[118:119]
	s_mov_b32 s55, 0x3feec746
	v_add_f64 v[132:133], v[146:147], v[132:133]
	v_fma_f64 v[146:147], v[84:85], s[6:7], v[144:145]
	v_add_f64 v[116:117], v[122:123], v[116:117]
	v_add_f64 v[120:121], v[140:141], v[120:121]
	v_fma_f64 v[122:123], v[84:85], s[6:7], -v[144:145]
	v_fma_f64 v[148:149], v[84:85], s[18:19], v[142:143]
	v_mul_f64 v[140:141], v[104:105], s[22:23]
	v_mul_f64 v[144:145], v[100:101], s[48:49]
	v_fma_f64 v[150:151], v[90:91], s[18:19], v[136:137]
	v_add_f64 v[132:133], v[146:147], v[132:133]
	v_fma_f64 v[136:137], v[90:91], s[18:19], -v[136:137]
	s_mov_b32 s54, s36
	v_add_f64 v[116:117], v[122:123], v[116:117]
	v_add_f64 v[120:121], v[148:149], v[120:121]
	v_mul_f64 v[148:149], v[70:71], s[38:39]
	v_mul_f64 v[146:147], v[100:101], s[42:43]
	v_fma_f64 v[152:153], v[90:91], s[2:3], v[140:141]
	v_fma_f64 v[154:155], v[94:95], s[8:9], v[144:145]
	v_add_f64 v[122:123], v[150:151], v[132:133]
	v_fma_f64 v[144:145], v[94:95], s[8:9], -v[144:145]
	v_fma_f64 v[134:135], v[72:73], s[8:9], -v[134:135]
	v_add_f64 v[116:117], v[136:137], v[116:117]
	v_add_f64 v[118:119], v[12:13], v[118:119]
	v_fma_f64 v[136:137], v[68:69], s[18:19], v[148:149]
	v_mul_f64 v[150:151], v[76:77], s[54:55]
	v_mul_f64 v[132:133], v[110:111], s[36:37]
	v_add_f64 v[120:121], v[152:153], v[120:121]
	v_add_f64 v[122:123], v[154:155], v[122:123]
	v_mul_f64 v[154:155], v[110:111], s[50:51]
	v_add_f64 v[116:117], v[144:145], v[116:117]
	v_fma_f64 v[144:145], v[94:95], s[30:31], v[146:147]
	v_add_f64 v[118:119], v[134:135], v[118:119]
	v_fma_f64 v[134:135], v[78:79], s[14:15], -v[138:139]
	v_add_f64 v[136:137], v[12:13], v[136:137]
	v_fma_f64 v[138:139], v[72:73], s[16:17], v[150:151]
	v_mul_f64 v[156:157], v[82:83], s[22:23]
	v_fma_f64 v[152:153], v[102:103], s[16:17], v[132:133]
	v_fma_f64 v[132:133], v[102:103], s[16:17], -v[132:133]
	v_add_f64 v[120:121], v[144:145], v[120:121]
	v_fma_f64 v[144:145], v[102:103], s[6:7], v[154:155]
	v_add_f64 v[118:119], v[134:135], v[118:119]
	v_fma_f64 v[134:135], v[84:85], s[18:19], -v[142:143]
	v_add_f64 v[136:137], v[138:139], v[136:137]
	v_fma_f64 v[138:139], v[78:79], s[2:3], v[156:157]
	v_mul_f64 v[142:143], v[88:89], s[40:41]
	s_mov_b32 s59, 0x3fefdd0d
	s_mov_b32 s58, s34
	v_add_f64 v[122:123], v[152:153], v[122:123]
	v_mul_f64 v[152:153], v[114:115], s[58:59]
	v_add_f64 v[132:133], v[132:133], v[116:117]
	v_add_f64 v[116:117], v[134:135], v[118:119]
	v_fma_f64 v[118:119], v[90:91], s[2:3], -v[140:141]
	v_add_f64 v[134:135], v[138:139], v[136:137]
	v_fma_f64 v[136:137], v[84:85], s[24:25], v[142:143]
	v_mul_f64 v[138:139], v[104:105], s[58:59]
	v_add_f64 v[140:141], v[144:145], v[120:121]
	v_fma_f64 v[144:145], v[68:69], s[18:19], -v[148:149]
	v_fma_f64 v[120:121], v[106:107], s[14:15], v[152:153]
	v_mul_f64 v[148:149], v[114:115], s[36:37]
	v_mul_f64 v[158:159], v[100:101], s[26:27]
	v_fma_f64 v[150:151], v[72:73], s[16:17], -v[150:151]
	v_add_f64 v[134:135], v[136:137], v[134:135]
	v_fma_f64 v[136:137], v[90:91], s[14:15], v[138:139]
	v_add_f64 v[118:119], v[118:119], v[116:117]
	v_add_f64 v[144:145], v[12:13], v[144:145]
	v_fma_f64 v[146:147], v[94:95], s[30:31], -v[146:147]
	v_add_f64 v[116:117], v[120:121], v[122:123]
	v_fma_f64 v[120:121], v[106:107], s[14:15], -v[152:153]
	v_fma_f64 v[122:123], v[106:107], s[16:17], v[148:149]
	v_fma_f64 v[152:153], v[102:103], s[6:7], -v[154:155]
	v_add_f64 v[134:135], v[136:137], v[134:135]
	v_fma_f64 v[136:137], v[94:95], s[6:7], v[158:159]
	v_add_f64 v[144:145], v[150:151], v[144:145]
	v_fma_f64 v[150:151], v[78:79], s[2:3], -v[156:157]
	v_add_f64 v[146:147], v[146:147], v[118:119]
	v_add_f64 v[120:121], v[120:121], v[132:133]
	v_mul_f64 v[132:133], v[110:111], s[42:43]
	v_add_f64 v[118:119], v[122:123], v[140:141]
	v_mul_f64 v[140:141], v[70:71], s[36:37]
	v_add_f64 v[134:135], v[136:137], v[134:135]
	v_fma_f64 v[142:143], v[84:85], s[24:25], -v[142:143]
	v_add_f64 v[136:137], v[150:151], v[144:145]
	s_mov_b32 s57, 0x3fe0d888
	s_mov_b32 s56, s40
	v_add_f64 v[122:123], v[152:153], v[146:147]
	v_fma_f64 v[146:147], v[106:107], s[16:17], -v[148:149]
	v_fma_f64 v[144:145], v[102:103], s[30:31], v[132:133]
	v_fma_f64 v[148:149], v[68:69], s[16:17], v[140:141]
	v_mul_f64 v[150:151], v[76:77], s[56:57]
	v_add_f64 v[136:137], v[142:143], v[136:137]
	v_fma_f64 v[140:141], v[68:69], s[16:17], -v[140:141]
	v_fma_f64 v[138:139], v[90:91], s[14:15], -v[138:139]
	v_mul_f64 v[154:155], v[70:71], s[34:35]
	v_add_f64 v[122:123], v[146:147], v[122:123]
	v_mul_f64 v[146:147], v[114:115], s[48:49]
	v_add_f64 v[134:135], v[144:145], v[134:135]
	v_add_f64 v[142:143], v[12:13], v[148:149]
	v_fma_f64 v[144:145], v[72:73], s[24:25], v[150:151]
	v_mul_f64 v[148:149], v[82:83], s[50:51]
	v_fma_f64 v[150:151], v[72:73], s[24:25], -v[150:151]
	v_add_f64 v[140:141], v[12:13], v[140:141]
	v_add_f64 v[136:137], v[138:139], v[136:137]
	v_fma_f64 v[138:139], v[94:95], s[6:7], -v[158:159]
	v_fma_f64 v[152:153], v[106:107], s[8:9], v[146:147]
	v_mul_f64 v[156:157], v[88:89], s[28:29]
	v_add_f64 v[142:143], v[144:145], v[142:143]
	v_fma_f64 v[144:145], v[78:79], s[6:7], v[148:149]
	v_fma_f64 v[148:149], v[78:79], s[6:7], -v[148:149]
	v_add_f64 v[140:141], v[150:151], v[140:141]
	v_mul_f64 v[150:151], v[76:77], s[42:43]
	v_add_f64 v[136:137], v[138:139], v[136:137]
	v_fma_f64 v[138:139], v[68:69], s[14:15], v[154:155]
	v_add_f64 v[134:135], v[152:153], v[134:135]
	v_mul_f64 v[152:153], v[104:105], s[42:43]
	v_add_f64 v[142:143], v[144:145], v[142:143]
	v_fma_f64 v[144:145], v[84:85], s[8:9], v[156:157]
	v_fma_f64 v[132:133], v[102:103], s[30:31], -v[132:133]
	v_add_f64 v[140:141], v[148:149], v[140:141]
	v_fma_f64 v[148:149], v[84:85], s[8:9], -v[156:157]
	v_add_f64 v[138:139], v[12:13], v[138:139]
	v_fma_f64 v[156:157], v[72:73], s[30:31], v[150:151]
	v_mul_f64 v[158:159], v[82:83], s[54:55]
	v_mul_f64 v[160:161], v[100:101], s[58:59]
	v_add_f64 v[142:143], v[144:145], v[142:143]
	v_fma_f64 v[144:145], v[90:91], s[30:31], v[152:153]
	v_add_f64 v[132:133], v[132:133], v[136:137]
	v_add_f64 v[136:137], v[148:149], v[140:141]
	v_fma_f64 v[140:141], v[90:91], s[30:31], -v[152:153]
	v_add_f64 v[138:139], v[156:157], v[138:139]
	v_fma_f64 v[148:149], v[78:79], s[16:17], v[158:159]
	v_mul_f64 v[152:153], v[88:89], s[46:47]
	v_mul_f64 v[156:157], v[110:111], s[22:23]
	v_add_f64 v[142:143], v[144:145], v[142:143]
	v_fma_f64 v[144:145], v[94:95], s[14:15], v[160:161]
	v_fma_f64 v[154:155], v[68:69], s[14:15], -v[154:155]
	v_add_f64 v[136:137], v[140:141], v[136:137]
	v_fma_f64 v[140:141], v[94:95], s[14:15], -v[160:161]
	v_add_f64 v[138:139], v[148:149], v[138:139]
	v_fma_f64 v[148:149], v[84:85], s[2:3], v[152:153]
	v_mul_f64 v[160:161], v[104:105], s[28:29]
	v_mul_f64 v[162:163], v[114:115], s[38:39]
	v_fma_f64 v[146:147], v[106:107], s[8:9], -v[146:147]
	v_add_f64 v[142:143], v[144:145], v[142:143]
	v_fma_f64 v[144:145], v[102:103], s[2:3], v[156:157]
	v_add_f64 v[136:137], v[140:141], v[136:137]
	v_fma_f64 v[140:141], v[102:103], s[2:3], -v[156:157]
	v_add_f64 v[138:139], v[148:149], v[138:139]
	v_fma_f64 v[148:149], v[90:91], s[8:9], v[160:161]
	v_fma_f64 v[150:151], v[72:73], s[30:31], -v[150:151]
	v_add_f64 v[154:155], v[12:13], v[154:155]
	v_add_f64 v[132:133], v[146:147], v[132:133]
	;; [unrolled: 1-line block ×3, first 2 shown]
	v_fma_f64 v[144:145], v[106:107], s[18:19], v[162:163]
	v_add_f64 v[136:137], v[140:141], v[136:137]
	v_fma_f64 v[140:141], v[106:107], s[18:19], -v[162:163]
	v_add_f64 v[138:139], v[148:149], v[138:139]
	v_mul_f64 v[148:149], v[70:71], s[28:29]
	v_add_f64 v[150:151], v[150:151], v[154:155]
	v_fma_f64 v[154:155], v[78:79], s[16:17], -v[158:159]
	v_mul_f64 v[156:157], v[100:101], s[40:41]
	v_add_f64 v[142:143], v[144:145], v[142:143]
	v_add_f64 v[158:159], v[64:65], v[12:13]
	;; [unrolled: 1-line block ×3, first 2 shown]
	v_mul_f64 v[140:141], v[76:77], s[38:39]
	v_fma_f64 v[146:147], v[68:69], s[8:9], v[148:149]
	v_fma_f64 v[144:145], v[68:69], s[8:9], -v[148:149]
	v_add_f64 v[148:149], v[154:155], v[150:151]
	v_fma_f64 v[150:151], v[84:85], s[2:3], -v[152:153]
	v_fma_f64 v[162:163], v[94:95], s[24:25], v[156:157]
	s_mov_b32 s59, 0x3fc7851a
	s_mov_b32 s58, s42
	v_fma_f64 v[152:153], v[72:73], s[18:19], -v[140:141]
	v_add_f64 v[146:147], v[12:13], v[146:147]
	v_fma_f64 v[140:141], v[72:73], s[18:19], v[140:141]
	v_add_f64 v[144:145], v[12:13], v[144:145]
	v_mul_f64 v[154:155], v[82:83], s[58:59]
	v_add_f64 v[138:139], v[162:163], v[138:139]
	v_mul_f64 v[162:163], v[110:111], s[52:53]
	v_add_f64 v[148:149], v[150:151], v[148:149]
	v_fma_f64 v[150:151], v[90:91], s[8:9], -v[160:161]
	v_mul_f64 v[160:161], v[88:89], s[54:55]
	v_add_f64 v[140:141], v[140:141], v[146:147]
	v_add_f64 v[146:147], v[60:61], v[158:159]
	;; [unrolled: 1-line block ×3, first 2 shown]
	v_fma_f64 v[152:153], v[78:79], s[30:31], -v[154:155]
	v_fma_f64 v[154:155], v[78:79], s[30:31], v[154:155]
	v_fma_f64 v[158:159], v[102:103], s[18:19], v[162:163]
	v_add_f64 v[148:149], v[150:151], v[148:149]
	v_fma_f64 v[150:151], v[94:95], s[24:25], -v[156:157]
	v_mul_f64 v[156:157], v[104:105], s[50:51]
	v_add_f64 v[146:147], v[56:57], v[146:147]
	v_mul_f64 v[164:165], v[110:111], s[34:35]
	v_add_f64 v[144:145], v[152:153], v[144:145]
	v_fma_f64 v[152:153], v[84:85], s[16:17], -v[160:161]
	v_add_f64 v[140:141], v[154:155], v[140:141]
	v_fma_f64 v[154:155], v[84:85], s[16:17], v[160:161]
	v_add_f64 v[138:139], v[158:159], v[138:139]
	v_mul_f64 v[158:159], v[70:71], s[26:27]
	v_add_f64 v[146:147], v[52:53], v[146:147]
	v_add_f64 v[148:149], v[150:151], v[148:149]
	v_fma_f64 v[150:151], v[90:91], s[6:7], -v[156:157]
	v_add_f64 v[144:145], v[152:153], v[144:145]
	v_mul_f64 v[152:153], v[100:101], s[22:23]
	v_add_f64 v[140:141], v[154:155], v[140:141]
	v_fma_f64 v[154:155], v[90:91], s[6:7], v[156:157]
	v_fma_f64 v[156:157], v[68:69], s[6:7], v[158:159]
	v_add_f64 v[146:147], v[48:49], v[146:147]
	v_mul_f64 v[160:161], v[76:77], s[34:35]
	v_mul_f64 v[166:167], v[82:83], s[38:39]
	v_add_f64 v[144:145], v[150:151], v[144:145]
	v_fma_f64 v[150:151], v[94:95], s[2:3], -v[152:153]
	v_mul_f64 v[70:71], v[70:71], s[22:23]
	v_add_f64 v[140:141], v[154:155], v[140:141]
	v_add_f64 v[154:155], v[12:13], v[156:157]
	;; [unrolled: 1-line block ×3, first 2 shown]
	v_fma_f64 v[156:157], v[72:73], s[14:15], v[160:161]
	v_fma_f64 v[68:69], v[68:69], s[6:7], -v[158:159]
	v_mul_f64 v[76:77], v[76:77], s[26:27]
	v_add_f64 v[144:145], v[150:151], v[144:145]
	v_fma_f64 v[150:151], v[102:103], s[14:15], -v[164:165]
	v_add_f64 v[70:71], v[74:75], -v[70:71]
	v_mul_f64 v[74:75], v[88:89], s[42:43]
	v_add_f64 v[146:147], v[40:41], v[146:147]
	v_add_f64 v[154:155], v[156:157], v[154:155]
	v_fma_f64 v[156:157], v[78:79], s[18:19], v[166:167]
	v_fma_f64 v[72:73], v[72:73], s[14:15], -v[160:161]
	v_add_f64 v[68:69], v[12:13], v[68:69]
	v_add_f64 v[144:145], v[150:151], v[144:145]
	v_mul_f64 v[82:83], v[82:83], s[28:29]
	v_add_f64 v[76:77], v[80:81], -v[76:77]
	v_add_f64 v[146:147], v[36:37], v[146:147]
	v_add_f64 v[12:13], v[12:13], v[70:71]
	v_add_f64 v[150:151], v[156:157], v[154:155]
	v_fma_f64 v[70:71], v[84:85], s[30:31], v[74:75]
	v_mul_f64 v[80:81], v[104:105], s[56:57]
	v_fma_f64 v[78:79], v[78:79], s[18:19], -v[166:167]
	v_add_f64 v[68:69], v[72:73], v[68:69]
	v_add_f64 v[72:73], v[86:87], -v[82:83]
	v_add_f64 v[146:147], v[32:33], v[146:147]
	v_mul_f64 v[82:83], v[88:89], s[34:35]
	v_add_f64 v[12:13], v[76:77], v[12:13]
	v_add_f64 v[70:71], v[70:71], v[150:151]
	v_fma_f64 v[76:77], v[90:91], s[24:25], v[80:81]
	v_fma_f64 v[74:75], v[84:85], s[30:31], -v[74:75]
	v_add_f64 v[68:69], v[78:79], v[68:69]
	v_mul_f64 v[78:79], v[104:105], s[36:37]
	v_add_f64 v[84:85], v[28:29], v[146:147]
	v_add_f64 v[82:83], v[92:93], -v[82:83]
	v_add_f64 v[12:13], v[72:73], v[12:13]
	v_mul_f64 v[72:73], v[100:101], s[54:55]
	v_add_f64 v[70:71], v[76:77], v[70:71]
	v_fma_f64 v[76:77], v[90:91], s[24:25], -v[80:81]
	v_add_f64 v[68:69], v[74:75], v[68:69]
	v_add_f64 v[74:75], v[98:99], -v[78:79]
	v_add_f64 v[80:81], v[24:25], v[84:85]
	v_mul_f64 v[78:79], v[100:101], s[38:39]
	v_add_f64 v[12:13], v[82:83], v[12:13]
	v_fma_f64 v[82:83], v[94:95], s[16:17], v[72:73]
	v_fma_f64 v[72:73], v[94:95], s[16:17], -v[72:73]
	v_fma_f64 v[152:153], v[94:95], s[2:3], v[152:153]
	v_add_f64 v[68:69], v[76:77], v[68:69]
	v_mul_f64 v[76:77], v[110:111], s[40:41]
	v_add_f64 v[80:81], v[20:21], v[80:81]
	v_add_f64 v[78:79], v[96:97], -v[78:79]
	v_add_f64 v[12:13], v[74:75], v[12:13]
	v_mul_f64 v[84:85], v[110:111], s[48:49]
	v_add_f64 v[70:71], v[82:83], v[70:71]
	v_add_f64 v[140:141], v[152:153], v[140:141]
	;; [unrolled: 1-line block ×3, first 2 shown]
	v_add_f64 v[72:73], v[108:109], -v[76:77]
	v_add_f64 v[80:81], v[16:17], v[80:81]
	v_mul_f64 v[76:77], v[114:115], s[42:43]
	v_add_f64 v[12:13], v[78:79], v[12:13]
	v_fma_f64 v[74:75], v[102:103], s[14:15], v[164:165]
	v_fma_f64 v[82:83], v[102:103], s[8:9], -v[84:85]
	v_fma_f64 v[78:79], v[102:103], s[8:9], v[84:85]
	v_mul_f64 v[84:85], v[114:115], s[40:41]
	v_mul_f64 v[88:89], v[114:115], s[46:47]
	v_add_f64 v[80:81], v[4:5], v[80:81]
	v_fma_f64 v[162:163], v[102:103], s[18:19], -v[162:163]
	v_mul_f64 v[86:87], v[114:115], s[50:51]
	v_add_f64 v[76:77], v[112:113], -v[76:77]
	v_add_f64 v[12:13], v[72:73], v[12:13]
	v_add_f64 v[68:69], v[82:83], v[68:69]
	;; [unrolled: 1-line block ×3, first 2 shown]
	v_fma_f64 v[74:75], v[106:107], s[24:25], -v[84:85]
	v_add_f64 v[80:81], v[8:9], v[80:81]
	v_fma_f64 v[90:91], v[106:107], s[2:3], -v[88:89]
	v_add_f64 v[148:149], v[162:163], v[148:149]
	v_fma_f64 v[82:83], v[106:107], s[6:7], v[86:87]
	v_fma_f64 v[86:87], v[106:107], s[6:7], -v[86:87]
	v_fma_f64 v[84:85], v[106:107], s[24:25], v[84:85]
	v_fma_f64 v[88:89], v[106:107], s[2:3], v[88:89]
	v_add_f64 v[70:71], v[78:79], v[70:71]
	v_add_f64 v[12:13], v[76:77], v[12:13]
	;; [unrolled: 1-line block ×7, first 2 shown]
	s_movk_i32 s33, 0x88
	v_add_f64 v[72:73], v[84:85], v[72:73]
	v_add_f64 v[70:71], v[88:89], v[70:71]
	v_mad_u32_u24 v82, v126, s33, 0
	ds_write2_b64 v82, v[76:77], v[12:13] offset1:1
	ds_write2_b64 v82, v[68:69], v[74:75] offset0:2 offset1:3
	ds_write2_b64 v82, v[78:79], v[136:137] offset0:4 offset1:5
	;; [unrolled: 1-line block ×7, first 2 shown]
	ds_write_b64 v82, v[130:131] offset:128
.LBB0_13:
	s_or_b64 exec, exec, s[44:45]
	v_add_f64 v[116:117], v[64:65], -v[0:1]
	v_add_f64 v[112:113], v[2:3], v[66:67]
	v_add_f64 v[110:111], v[60:61], -v[8:9]
	v_add_f64 v[106:107], v[10:11], v[62:63]
	;; [unrolled: 2-line block ×4, first 2 shown]
	v_mul_f64 v[114:115], v[116:117], s[22:23]
	v_add_f64 v[52:53], v[48:49], -v[20:21]
	v_mul_f64 v[118:119], v[110:111], s[26:27]
	v_add_f64 v[48:49], v[22:23], v[50:51]
	v_mul_f64 v[108:109], v[104:105], s[28:29]
	v_add_f64 v[44:45], v[44:45], -v[24:25]
	v_mul_f64 v[102:103], v[60:61], s[34:35]
	v_add_f64 v[20:21], v[26:27], v[46:47]
	v_fma_f64 v[0:1], v[112:113], s[2:3], -v[114:115]
	v_mul_f64 v[64:65], v[52:53], s[36:37]
	v_fma_f64 v[4:5], v[106:107], s[6:7], -v[118:119]
	v_add_f64 v[16:17], v[40:41], -v[28:29]
	v_fma_f64 v[8:9], v[100:101], s[8:9], -v[108:109]
	v_mul_f64 v[40:41], v[44:45], s[38:39]
	v_lshl_add_u32 v136, v126, 3, 0
	v_add_u32_e32 v144, 0x1000, v136
	v_add_f64 v[0:1], v[14:15], v[0:1]
	v_fma_f64 v[12:13], v[48:49], s[16:17], -v[64:65]
	s_waitcnt lgkmcnt(0)
	v_mul_f64 v[28:29], v[16:17], s[40:41]
	; wave barrier
	v_fma_f64 v[24:25], v[20:21], s[18:19], -v[40:41]
	ds_read2_b64 v[84:87], v136 offset1:51
	v_add_u32_e32 v127, 0x800, v136
	v_add_f64 v[0:1], v[4:5], v[0:1]
	v_fma_f64 v[4:5], v[56:57], s[14:15], -v[102:103]
	ds_read2_b64 v[88:91], v136 offset0:102 offset1:153
	v_add_f64 v[0:1], v[8:9], v[0:1]
	v_add_f64 v[8:9], v[30:31], v[42:43]
	;; [unrolled: 1-line block ×3, first 2 shown]
	v_add_f64 v[4:5], v[36:37], -v[32:33]
	v_fma_f64 v[36:37], v[8:9], s[24:25], -v[28:29]
	v_add_f64 v[32:33], v[12:13], v[0:1]
	v_add_f64 v[0:1], v[34:35], v[38:39]
	v_mul_f64 v[12:13], v[4:5], s[42:43]
	v_add_f64 v[24:25], v[24:25], v[32:33]
	v_fma_f64 v[32:33], v[0:1], s[30:31], -v[12:13]
	v_add_f64 v[24:25], v[36:37], v[24:25]
	v_add_u32_e32 v36, 0xc00, v136
	ds_read2_b64 v[92:95], v136 offset0:204 offset1:255
	ds_read2_b64 v[80:83], v127 offset0:152 offset1:203
	;; [unrolled: 1-line block ×6, first 2 shown]
	s_waitcnt lgkmcnt(0)
	; wave barrier
	s_waitcnt lgkmcnt(0)
	v_add_f64 v[132:133], v[32:33], v[24:25]
	s_and_saveexec_b64 s[22:23], s[0:1]
	s_cbranch_execz .LBB0_15
; %bb.14:
	v_add_f64 v[24:25], v[66:67], v[14:15]
	v_mul_f64 v[137:138], v[48:49], s[16:17]
	s_mov_b32 s16, 0x923c349f
	s_mov_b32 s17, 0xbfeec746
	v_mul_f64 v[122:123], v[100:101], s[8:9]
	s_mov_b32 s34, 0x2a9d6da3
	s_mov_b32 s8, 0xc61f0d01
	s_mov_b32 s26, 0x4363dd80
	v_add_f64 v[62:63], v[62:63], v[24:25]
	s_mov_b32 s35, 0xbfe58eea
	s_mov_b32 s9, 0xbfd183b1
	;; [unrolled: 1-line block ×5, first 2 shown]
	v_mul_f64 v[66:67], v[112:113], s[2:3]
	v_mul_f64 v[139:140], v[20:21], s[18:19]
	v_add_f64 v[58:59], v[58:59], v[62:63]
	s_mov_b32 s40, 0x7c9e640b
	s_mov_b32 s28, 0xeb564b22
	;; [unrolled: 1-line block ×7, first 2 shown]
	v_add_f64 v[54:55], v[54:55], v[58:59]
	s_mov_b32 s39, 0xbfc7851a
	v_mul_f64 v[120:121], v[106:107], s[6:7]
	v_mul_f64 v[58:59], v[116:117], s[28:29]
	;; [unrolled: 1-line block ×5, first 2 shown]
	v_add_f64 v[66:67], v[66:67], v[114:115]
	v_add_f64 v[50:51], v[50:51], v[54:55]
	v_mul_f64 v[54:55], v[116:117], s[40:41]
	v_mul_f64 v[134:135], v[56:57], s[14:15]
	s_mov_b32 s0, 0x2b2883cd
	s_mov_b32 s2, 0x3259b75e
	;; [unrolled: 1-line block ×5, first 2 shown]
	v_add_f64 v[46:47], v[46:47], v[50:51]
	v_mul_f64 v[50:51], v[116:117], s[34:35]
	v_mul_f64 v[24:25], v[0:1], s[30:31]
	s_mov_b32 s1, 0x3fdc86fa
	s_mov_b32 s3, 0x3fb79ee6
	;; [unrolled: 1-line block ×5, first 2 shown]
	v_add_f64 v[42:43], v[42:43], v[46:47]
	v_mul_f64 v[46:47], v[116:117], s[16:17]
	v_mul_f64 v[116:117], v[116:117], s[38:39]
	v_fma_f64 v[114:115], v[112:113], s[6:7], v[50:51]
	v_fma_f64 v[50:51], v[112:113], s[6:7], -v[50:51]
	s_mov_b32 s31, 0x3feca52d
	s_mov_b32 s48, s16
	s_mov_b32 s30, s40
	v_add_f64 v[37:38], v[38:39], v[42:43]
	v_mul_f64 v[42:43], v[110:111], s[52:53]
	s_mov_b32 s43, 0x3fd71e95
	v_mul_f64 v[147:148], v[110:111], s[18:19]
	v_mul_f64 v[149:150], v[110:111], s[38:39]
	;; [unrolled: 1-line block ×4, first 2 shown]
	v_fma_f64 v[155:156], v[112:113], s[14:15], v[62:63]
	v_add_f64 v[34:35], v[34:35], v[37:38]
	v_add_f64 v[37:38], v[120:121], v[118:119]
	v_fma_f64 v[118:119], v[112:113], s[0:1], v[54:55]
	v_fma_f64 v[54:55], v[112:113], s[0:1], -v[54:55]
	v_fma_f64 v[120:121], v[112:113], s[2:3], v[58:59]
	v_fma_f64 v[58:59], v[112:113], s[2:3], -v[58:59]
	v_fma_f64 v[62:63], v[112:113], s[14:15], -v[62:63]
	v_fma_f64 v[157:158], v[112:113], s[24:25], v[141:142]
	v_add_f64 v[30:31], v[30:31], v[34:35]
	v_fma_f64 v[34:35], v[112:113], s[8:9], v[46:47]
	v_fma_f64 v[46:47], v[112:113], s[8:9], -v[46:47]
	v_fma_f64 v[141:142], v[112:113], s[24:25], -v[141:142]
	v_fma_f64 v[159:160], v[112:113], s[36:37], v[116:117]
	v_add_f64 v[66:67], v[14:15], v[66:67]
	v_add_f64 v[114:115], v[14:15], v[114:115]
	s_mov_b32 s44, 0x370991
	v_add_f64 v[26:27], v[26:27], v[30:31]
	v_add_f64 v[34:35], v[14:15], v[34:35]
	;; [unrolled: 1-line block ×3, first 2 shown]
	v_fma_f64 v[30:31], v[112:113], s[36:37], -v[116:117]
	v_fma_f64 v[112:113], v[106:107], s[2:3], v[145:146]
	v_fma_f64 v[116:117], v[106:107], s[2:3], -v[145:146]
	s_mov_b32 s45, 0x3fedd6d0
	s_mov_b32 s47, 0x3fc7851a
	v_add_f64 v[22:23], v[22:23], v[26:27]
	v_fma_f64 v[26:27], v[106:107], s[24:25], v[42:43]
	v_fma_f64 v[42:43], v[106:107], s[24:25], -v[42:43]
	s_mov_b32 s46, s38
	v_fma_f64 v[145:146], v[106:107], s[14:15], v[147:148]
	v_fma_f64 v[147:148], v[106:107], s[14:15], -v[147:148]
	v_fma_f64 v[161:162], v[106:107], s[36:37], v[149:150]
	v_fma_f64 v[149:150], v[106:107], s[36:37], -v[149:150]
	v_add_f64 v[18:19], v[18:19], v[22:23]
	v_add_f64 v[22:23], v[14:15], v[50:51]
	;; [unrolled: 1-line block ×3, first 2 shown]
	v_mul_f64 v[34:35], v[110:111], s[42:43]
	v_fma_f64 v[163:164], v[106:107], s[8:9], v[151:152]
	v_fma_f64 v[151:152], v[106:107], s[8:9], -v[151:152]
	v_fma_f64 v[165:166], v[106:107], s[0:1], v[153:154]
	v_add_f64 v[50:51], v[14:15], v[118:119]
	v_add_f64 v[6:7], v[6:7], v[18:19]
	;; [unrolled: 1-line block ×15, first 2 shown]
	v_fma_f64 v[66:67], v[106:107], s[0:1], -v[153:154]
	v_fma_f64 v[110:111], v[106:107], s[44:45], v[34:35]
	v_add_f64 v[2:3], v[2:3], v[6:7]
	v_add_f64 v[6:7], v[42:43], v[46:47]
	v_mul_f64 v[46:47], v[104:105], s[18:19]
	v_fma_f64 v[34:35], v[106:107], s[44:45], -v[34:35]
	v_add_f64 v[106:107], v[122:123], v[108:109]
	v_mul_f64 v[112:113], v[104:105], s[46:47]
	v_add_f64 v[37:38], v[145:146], v[50:51]
	v_add_f64 v[50:51], v[147:148], v[54:55]
	v_mul_f64 v[114:115], v[104:105], s[48:49]
	s_mov_b32 s47, 0x3fe58eea
	v_fma_f64 v[108:109], v[100:101], s[14:15], v[46:47]
	v_fma_f64 v[46:47], v[100:101], s[14:15], -v[46:47]
	v_add_f64 v[14:15], v[34:35], v[14:15]
	v_fma_f64 v[34:35], v[100:101], s[36:37], v[112:113]
	s_mov_b32 s46, s34
	s_mov_b32 s51, 0xbfd71e95
	;; [unrolled: 1-line block ×3, first 2 shown]
	v_add_f64 v[54:55], v[161:162], v[118:119]
	v_add_f64 v[58:59], v[149:150], v[58:59]
	;; [unrolled: 1-line block ×3, first 2 shown]
	v_fma_f64 v[46:47], v[100:101], s[36:37], -v[112:113]
	v_add_f64 v[30:31], v[106:107], v[30:31]
	v_add_f64 v[10:11], v[108:109], v[10:11]
	v_fma_f64 v[106:107], v[100:101], s[8:9], v[114:115]
	v_mul_f64 v[108:109], v[104:105], s[46:47]
	v_mul_f64 v[112:113], v[104:105], s[50:51]
	v_add_f64 v[34:35], v[34:35], v[37:38]
	v_add_f64 v[18:19], v[163:164], v[18:19]
	;; [unrolled: 1-line block ×3, first 2 shown]
	v_fma_f64 v[46:47], v[100:101], s[8:9], -v[114:115]
	v_mul_f64 v[50:51], v[104:105], s[28:29]
	v_add_f64 v[42:43], v[151:152], v[62:63]
	v_add_f64 v[62:63], v[165:166], v[120:121]
	;; [unrolled: 1-line block ×3, first 2 shown]
	v_fma_f64 v[114:115], v[100:101], s[6:7], v[108:109]
	v_add_f64 v[54:55], v[106:107], v[54:55]
	v_fma_f64 v[106:107], v[100:101], s[6:7], -v[108:109]
	v_fma_f64 v[108:109], v[100:101], s[44:45], v[112:113]
	v_mul_f64 v[104:105], v[104:105], s[26:27]
	v_add_f64 v[46:47], v[46:47], v[58:59]
	v_fma_f64 v[58:59], v[100:101], s[2:3], v[50:51]
	v_fma_f64 v[50:51], v[100:101], s[2:3], -v[50:51]
	v_add_f64 v[110:111], v[110:111], v[155:156]
	v_fma_f64 v[112:113], v[100:101], s[44:45], -v[112:113]
	v_add_f64 v[6:7], v[106:107], v[6:7]
	v_add_f64 v[18:19], v[108:109], v[18:19]
	v_fma_f64 v[106:107], v[100:101], s[24:25], v[104:105]
	v_mul_f64 v[108:109], v[60:61], s[38:39]
	v_add_f64 v[58:59], v[58:59], v[62:63]
	v_mul_f64 v[62:63], v[60:61], s[48:49]
	v_add_f64 v[50:51], v[50:51], v[66:67]
	v_fma_f64 v[66:67], v[100:101], s[24:25], -v[104:105]
	v_mul_f64 v[100:101], v[60:61], s[42:43]
	v_add_f64 v[102:103], v[134:135], v[102:103]
	v_add_f64 v[104:105], v[106:107], v[110:111]
	v_fma_f64 v[106:107], v[56:57], s[36:37], v[108:109]
	s_mov_b32 s55, 0x3fe9895b
	v_fma_f64 v[110:111], v[56:57], s[8:9], v[62:63]
	v_fma_f64 v[62:63], v[56:57], s[8:9], -v[62:63]
	v_add_f64 v[14:15], v[66:67], v[14:15]
	v_fma_f64 v[66:67], v[56:57], s[44:45], v[100:101]
	v_add_f64 v[30:31], v[102:103], v[30:31]
	v_mul_f64 v[102:103], v[60:61], s[40:41]
	s_mov_b32 s54, s18
	v_add_f64 v[26:27], v[114:115], v[26:27]
	v_fma_f64 v[108:109], v[56:57], s[36:37], -v[108:109]
	v_add_f64 v[10:11], v[106:107], v[10:11]
	v_add_f64 v[37:38], v[62:63], v[37:38]
	v_mul_f64 v[62:63], v[60:61], s[26:27]
	v_add_f64 v[54:55], v[66:67], v[54:55]
	v_fma_f64 v[66:67], v[56:57], s[44:45], -v[100:101]
	v_fma_f64 v[100:101], v[56:57], s[0:1], v[102:103]
	v_mul_f64 v[106:107], v[60:61], s[54:55]
	v_add_f64 v[42:43], v[112:113], v[42:43]
	v_add_f64 v[22:23], v[108:109], v[22:23]
	v_fma_f64 v[102:103], v[56:57], s[0:1], -v[102:103]
	v_fma_f64 v[108:109], v[56:57], s[24:25], v[62:63]
	v_fma_f64 v[62:63], v[56:57], s[24:25], -v[62:63]
	v_add_f64 v[46:47], v[66:67], v[46:47]
	v_mul_f64 v[60:61], v[60:61], s[46:47]
	v_add_f64 v[26:27], v[100:101], v[26:27]
	v_mul_f64 v[66:67], v[52:53], s[52:53]
	v_fma_f64 v[100:101], v[56:57], s[14:15], v[106:107]
	v_add_f64 v[6:7], v[102:103], v[6:7]
	v_add_f64 v[34:35], v[110:111], v[34:35]
	;; [unrolled: 1-line block ×3, first 2 shown]
	v_fma_f64 v[62:63], v[56:57], s[14:15], -v[106:107]
	v_fma_f64 v[102:103], v[56:57], s[6:7], v[60:61]
	v_fma_f64 v[56:57], v[56:57], s[6:7], -v[60:61]
	v_add_f64 v[60:61], v[137:138], v[64:65]
	v_fma_f64 v[64:65], v[48:49], s[24:25], v[66:67]
	v_add_f64 v[58:59], v[100:101], v[58:59]
	v_mul_f64 v[100:101], v[52:53], s[46:47]
	v_fma_f64 v[66:67], v[48:49], s[24:25], -v[66:67]
	v_add_f64 v[50:51], v[62:63], v[50:51]
	v_add_f64 v[62:63], v[102:103], v[104:105]
	;; [unrolled: 1-line block ×5, first 2 shown]
	v_mul_f64 v[56:57], v[52:53], s[40:41]
	v_fma_f64 v[60:61], v[48:49], s[6:7], v[100:101]
	v_add_f64 v[22:23], v[66:67], v[22:23]
	v_fma_f64 v[64:65], v[48:49], s[6:7], -v[100:101]
	v_mul_f64 v[66:67], v[52:53], s[38:39]
	s_mov_b32 s41, 0x3fefdd0d
	s_mov_b32 s40, s28
	v_mul_f64 v[100:101], v[52:53], s[40:41]
	v_fma_f64 v[102:103], v[48:49], s[0:1], v[56:57]
	v_add_f64 v[34:35], v[60:61], v[34:35]
	v_fma_f64 v[56:57], v[48:49], s[0:1], -v[56:57]
	v_add_f64 v[37:38], v[64:65], v[37:38]
	v_fma_f64 v[60:61], v[48:49], s[36:37], v[66:67]
	v_mul_f64 v[64:65], v[52:53], s[50:51]
	v_fma_f64 v[66:67], v[48:49], s[36:37], -v[66:67]
	v_mul_f64 v[52:53], v[52:53], s[18:19]
	v_fma_f64 v[104:105], v[48:49], s[2:3], v[100:101]
	v_add_f64 v[39:40], v[139:140], v[40:41]
	v_add_f64 v[46:47], v[56:57], v[46:47]
	v_fma_f64 v[56:57], v[48:49], s[2:3], -v[100:101]
	v_add_f64 v[26:27], v[60:61], v[26:27]
	v_fma_f64 v[60:61], v[48:49], s[44:45], v[64:65]
	v_add_f64 v[6:7], v[66:67], v[6:7]
	v_fma_f64 v[64:65], v[48:49], s[44:45], -v[64:65]
	v_fma_f64 v[66:67], v[48:49], s[14:15], v[52:53]
	v_mul_f64 v[100:101], v[44:45], s[48:49]
	v_fma_f64 v[48:49], v[48:49], s[14:15], -v[52:53]
	v_add_f64 v[42:43], v[56:57], v[42:43]
	v_mul_f64 v[56:57], v[44:45], s[50:51]
	v_add_f64 v[52:53], v[60:61], v[58:59]
	v_add_f64 v[30:31], v[39:40], v[30:31]
	;; [unrolled: 1-line block ×4, first 2 shown]
	v_fma_f64 v[60:61], v[20:21], s[8:9], v[100:101]
	v_fma_f64 v[62:63], v[20:21], s[8:9], -v[100:101]
	v_add_f64 v[14:15], v[48:49], v[14:15]
	v_mul_f64 v[48:49], v[44:45], s[26:27]
	v_fma_f64 v[39:40], v[20:21], s[44:45], v[56:57]
	v_fma_f64 v[56:57], v[20:21], s[44:45], -v[56:57]
	v_mul_f64 v[64:65], v[44:45], s[40:41]
	v_mul_f64 v[32:33], v[8:9], s[24:25]
	v_add_f64 v[10:11], v[60:61], v[10:11]
	v_add_f64 v[22:23], v[62:63], v[22:23]
	v_mul_f64 v[60:61], v[44:45], s[34:35]
	v_fma_f64 v[62:63], v[20:21], s[24:25], v[48:49]
	v_fma_f64 v[48:49], v[20:21], s[24:25], -v[48:49]
	v_add_f64 v[54:55], v[102:103], v[54:55]
	v_add_f64 v[34:35], v[39:40], v[34:35]
	;; [unrolled: 1-line block ×3, first 2 shown]
	v_fma_f64 v[39:40], v[20:21], s[2:3], v[64:65]
	v_mul_f64 v[56:57], v[44:45], s[38:39]
	v_fma_f64 v[66:67], v[20:21], s[6:7], v[60:61]
	v_mul_f64 v[44:45], v[44:45], s[30:31]
	v_add_f64 v[46:47], v[48:49], v[46:47]
	v_fma_f64 v[48:49], v[20:21], s[6:7], -v[60:61]
	v_mul_f64 v[60:61], v[16:17], s[30:31]
	v_fma_f64 v[64:65], v[20:21], s[2:3], -v[64:65]
	v_add_f64 v[54:55], v[62:63], v[54:55]
	v_add_f64 v[26:27], v[39:40], v[26:27]
	v_fma_f64 v[39:40], v[20:21], s[36:37], v[56:57]
	v_fma_f64 v[56:57], v[20:21], s[36:37], -v[56:57]
	v_fma_f64 v[62:63], v[20:21], s[0:1], v[44:45]
	v_add_f64 v[41:42], v[48:49], v[42:43]
	v_fma_f64 v[20:21], v[20:21], s[0:1], -v[44:45]
	v_mul_f64 v[43:44], v[16:17], s[28:29]
	v_add_f64 v[28:29], v[32:33], v[28:29]
	v_fma_f64 v[32:33], v[8:9], s[0:1], v[60:61]
	v_add_f64 v[39:40], v[39:40], v[52:53]
	v_add_f64 v[48:49], v[56:57], v[50:51]
	v_fma_f64 v[52:53], v[8:9], s[0:1], -v[60:61]
	v_add_f64 v[6:7], v[64:65], v[6:7]
	v_add_f64 v[14:15], v[20:21], v[14:15]
	v_mul_f64 v[20:21], v[16:17], s[54:55]
	v_fma_f64 v[56:57], v[8:9], s[2:3], v[43:44]
	v_add_f64 v[28:29], v[28:29], v[30:31]
	v_add_f64 v[10:11], v[32:33], v[10:11]
	v_fma_f64 v[30:31], v[8:9], s[2:3], -v[43:44]
	v_mul_f64 v[32:33], v[16:17], s[50:51]
	v_mul_f64 v[43:44], v[16:17], s[38:39]
	v_add_f64 v[22:23], v[52:53], v[22:23]
	v_fma_f64 v[52:53], v[8:9], s[14:15], v[20:21]
	v_add_f64 v[34:35], v[56:57], v[34:35]
	v_fma_f64 v[20:21], v[8:9], s[14:15], -v[20:21]
	v_mul_f64 v[56:57], v[16:17], s[46:47]
	v_add_f64 v[30:31], v[30:31], v[37:38]
	v_fma_f64 v[37:38], v[8:9], s[44:45], v[32:33]
	v_fma_f64 v[32:33], v[8:9], s[44:45], -v[32:33]
	v_add_f64 v[50:51], v[62:63], v[58:59]
	v_fma_f64 v[58:59], v[8:9], s[36:37], v[43:44]
	v_fma_f64 v[43:44], v[8:9], s[36:37], -v[43:44]
	v_mul_f64 v[16:17], v[16:17], s[16:17]
	v_add_f64 v[20:21], v[20:21], v[46:47]
	v_fma_f64 v[45:46], v[8:9], s[6:7], v[56:57]
	v_add_f64 v[18:19], v[108:109], v[18:19]
	v_add_f64 v[6:7], v[32:33], v[6:7]
	v_mul_f64 v[32:33], v[4:5], s[42:43]
	v_add_f64 v[26:27], v[37:38], v[26:27]
	v_add_f64 v[37:38], v[43:44], v[41:42]
	v_fma_f64 v[41:42], v[8:9], s[6:7], -v[56:57]
	v_fma_f64 v[43:44], v[8:9], s[8:9], v[16:17]
	v_fma_f64 v[8:9], v[8:9], s[8:9], -v[16:17]
	v_mul_f64 v[16:17], v[4:5], s[26:27]
	v_add_f64 v[39:40], v[45:46], v[39:40]
	v_add_f64 v[12:13], v[24:25], v[12:13]
	v_fma_f64 v[24:25], v[0:1], s[44:45], v[32:33]
	v_fma_f64 v[32:33], v[0:1], s[44:45], -v[32:33]
	v_mul_f64 v[45:46], v[4:5], s[46:47]
	v_add_f64 v[18:19], v[104:105], v[18:19]
	v_add_f64 v[8:9], v[8:9], v[14:15]
	v_fma_f64 v[14:15], v[0:1], s[24:25], v[16:17]
	v_fma_f64 v[16:17], v[0:1], s[24:25], -v[16:17]
	v_add_f64 v[12:13], v[12:13], v[28:29]
	v_add_f64 v[10:11], v[24:25], v[10:11]
	;; [unrolled: 1-line block ×3, first 2 shown]
	v_fma_f64 v[28:29], v[0:1], s[6:7], -v[45:46]
	v_mul_f64 v[32:33], v[4:5], s[18:19]
	v_add_f64 v[18:19], v[66:67], v[18:19]
	v_fma_f64 v[24:25], v[0:1], s[6:7], v[45:46]
	v_mul_f64 v[45:46], v[4:5], s[30:31]
	v_add_f64 v[14:15], v[14:15], v[34:35]
	v_mul_f64 v[34:35], v[4:5], s[16:17]
	v_mul_f64 v[4:5], v[4:5], s[40:41]
	v_add_f64 v[52:53], v[52:53], v[54:55]
	v_add_f64 v[20:21], v[28:29], v[20:21]
	v_fma_f64 v[28:29], v[0:1], s[14:15], v[32:33]
	v_add_f64 v[18:19], v[58:59], v[18:19]
	v_add_f64 v[41:42], v[41:42], v[48:49]
	;; [unrolled: 1-line block ×3, first 2 shown]
	v_fma_f64 v[30:31], v[0:1], s[0:1], v[45:46]
	v_fma_f64 v[47:48], v[0:1], s[8:9], v[34:35]
	v_add_f64 v[43:44], v[43:44], v[50:51]
	v_fma_f64 v[49:50], v[0:1], s[2:3], v[4:5]
	v_fma_f64 v[4:5], v[0:1], s[2:3], -v[4:5]
	v_fma_f64 v[45:46], v[0:1], s[0:1], -v[45:46]
	;; [unrolled: 1-line block ×4, first 2 shown]
	v_add_f64 v[24:25], v[24:25], v[52:53]
	v_add_f64 v[26:27], v[28:29], v[26:27]
	;; [unrolled: 1-line block ×9, first 2 shown]
	v_lshl_add_u32 v6, v126, 7, v136
	ds_write2_b64 v6, v[2:3], v[12:13] offset1:1
	ds_write2_b64 v6, v[10:11], v[14:15] offset0:2 offset1:3
	ds_write2_b64 v6, v[24:25], v[26:27] offset0:4 offset1:5
	;; [unrolled: 1-line block ×7, first 2 shown]
	ds_write_b64 v6, v[132:133] offset:128
.LBB0_15:
	s_or_b64 exec, exec, s[22:23]
	s_movk_i32 s0, 0xf1
	v_mul_lo_u16_sdwa v0, v126, s0 dst_sel:DWORD dst_unused:UNUSED_PAD src0_sel:BYTE_0 src1_sel:DWORD
	v_lshrrev_b16_e32 v8, 12, v0
	v_add_u32_e32 v143, 51, v126
	v_mul_lo_u16_e32 v0, 17, v8
	v_sub_u16_e32 v9, v126, v0
	v_mul_lo_u16_sdwa v0, v143, s0 dst_sel:DWORD dst_unused:UNUSED_PAD src0_sel:BYTE_0 src1_sel:DWORD
	v_lshrrev_b16_e32 v12, 12, v0
	v_mov_b32_e32 v10, 4
	v_mul_lo_u16_e32 v0, 17, v12
	v_add_u32_e32 v142, 0x66, v126
	v_lshlrev_b32_sdwa v11, v10, v9 dst_sel:DWORD dst_unused:UNUSED_PAD src0_sel:DWORD src1_sel:BYTE_0
	v_sub_u16_e32 v13, v143, v0
	s_load_dwordx2 s[4:5], s[4:5], 0x0
	v_add_u32_e32 v141, 0x99, v126
	s_waitcnt lgkmcnt(0)
	; wave barrier
	s_waitcnt lgkmcnt(0)
	v_lshlrev_b32_sdwa v14, v10, v13 dst_sel:DWORD dst_unused:UNUSED_PAD src0_sel:DWORD src1_sel:BYTE_0
	global_load_dwordx4 v[0:3], v11, s[12:13]
	global_load_dwordx4 v[4:7], v14, s[12:13]
	v_mul_lo_u16_sdwa v11, v142, s0 dst_sel:DWORD dst_unused:UNUSED_PAD src0_sel:BYTE_0 src1_sel:DWORD
	v_lshrrev_b16_e32 v11, 12, v11
	v_mul_lo_u16_sdwa v16, v141, s0 dst_sel:DWORD dst_unused:UNUSED_PAD src0_sel:BYTE_0 src1_sel:DWORD
	v_mul_lo_u16_e32 v14, 17, v11
	v_lshrrev_b16_e32 v20, 12, v16
	v_sub_u16_e32 v14, v142, v14
	v_mul_lo_u16_e32 v16, 17, v20
	v_add_u32_e32 v140, 0xcc, v126
	v_lshlrev_b32_sdwa v15, v10, v14 dst_sel:DWORD dst_unused:UNUSED_PAD src0_sel:DWORD src1_sel:BYTE_0
	v_sub_u16_e32 v21, v141, v16
	v_lshlrev_b32_sdwa v22, v10, v21 dst_sel:DWORD dst_unused:UNUSED_PAD src0_sel:DWORD src1_sel:BYTE_0
	global_load_dwordx4 v[16:19], v15, s[12:13]
	global_load_dwordx4 v[40:43], v22, s[12:13]
	v_mul_lo_u16_sdwa v15, v140, s0 dst_sel:DWORD dst_unused:UNUSED_PAD src0_sel:BYTE_0 src1_sel:DWORD
	v_lshrrev_b16_e32 v149, 12, v15
	v_add_u32_e32 v139, 0xff, v126
	v_mul_lo_u16_e32 v15, 17, v149
	s_mov_b32 s0, 0xf0f1
	v_sub_u16_e32 v150, v140, v15
	v_mul_u32_u24_sdwa v15, v139, s0 dst_sel:DWORD dst_unused:UNUSED_PAD src0_sel:WORD_0 src1_sel:DWORD
	v_lshrrev_b32_e32 v151, 20, v15
	v_mul_lo_u16_e32 v15, 17, v151
	v_add_u32_e32 v138, 0x132, v126
	v_lshlrev_b32_sdwa v10, v10, v150 dst_sel:DWORD dst_unused:UNUSED_PAD src0_sel:DWORD src1_sel:BYTE_0
	v_sub_u16_e32 v152, v139, v15
	v_add_u32_e32 v137, 0x165, v126
	v_lshlrev_b32_e32 v15, 4, v152
	global_load_dwordx4 v[44:47], v10, s[12:13]
	global_load_dwordx4 v[48:51], v15, s[12:13]
	v_mul_u32_u24_sdwa v10, v138, s0 dst_sel:DWORD dst_unused:UNUSED_PAD src0_sel:WORD_0 src1_sel:DWORD
	v_lshrrev_b32_e32 v153, 20, v10
	v_mul_u32_u24_sdwa v15, v137, s0 dst_sel:DWORD dst_unused:UNUSED_PAD src0_sel:WORD_0 src1_sel:DWORD
	v_mul_lo_u16_e32 v10, 17, v153
	v_lshrrev_b32_e32 v155, 20, v15
	v_sub_u16_e32 v154, v138, v10
	v_mul_lo_u16_e32 v15, 17, v155
	v_lshlrev_b32_e32 v10, 4, v154
	v_sub_u16_e32 v156, v137, v15
	v_lshlrev_b32_e32 v15, 4, v156
	global_load_dwordx4 v[100:103], v10, s[12:13]
	global_load_dwordx4 v[104:107], v15, s[12:13]
	v_mov_b32_e32 v157, 3
	v_mul_u32_u24_e32 v8, 0x110, v8
	v_lshlrev_b32_sdwa v9, v157, v9 dst_sel:DWORD dst_unused:UNUSED_PAD src0_sel:DWORD src1_sel:BYTE_0
	ds_read2_b64 v[52:55], v136 offset1:51
	ds_read2_b64 v[108:111], v127 offset0:152 offset1:203
	ds_read2_b64 v[56:59], v136 offset0:102 offset1:153
	;; [unrolled: 1-line block ×7, first 2 shown]
	v_mul_u32_u24_e32 v10, 0x110, v12
	v_mul_u32_u24_e32 v11, 0x110, v11
	v_lshlrev_b32_sdwa v13, v157, v13 dst_sel:DWORD dst_unused:UNUSED_PAD src0_sel:DWORD src1_sel:BYTE_0
	v_lshlrev_b32_sdwa v14, v157, v14 dst_sel:DWORD dst_unused:UNUSED_PAD src0_sel:DWORD src1_sel:BYTE_0
	v_add3_u32 v145, 0, v8, v9
	v_mul_u32_u24_e32 v12, 0x110, v20
	v_lshlrev_b32_sdwa v15, v157, v21 dst_sel:DWORD dst_unused:UNUSED_PAD src0_sel:DWORD src1_sel:BYTE_0
	v_add3_u32 v146, 0, v10, v13
	v_add3_u32 v147, 0, v11, v14
	;; [unrolled: 1-line block ×3, first 2 shown]
	s_waitcnt lgkmcnt(0)
	; wave barrier
	s_waitcnt lgkmcnt(0)
	v_cmp_gt_u32_e64 s[0:1], 17, v126
	s_waitcnt vmcnt(7)
	v_mul_f64 v[8:9], v[108:109], v[2:3]
	s_waitcnt vmcnt(6)
	v_mul_f64 v[10:11], v[110:111], v[6:7]
	v_fma_f64 v[8:9], v[80:81], v[0:1], -v[8:9]
	v_fma_f64 v[10:11], v[82:83], v[4:5], -v[10:11]
	s_waitcnt vmcnt(5)
	v_mul_f64 v[12:13], v[112:113], v[18:19]
	s_waitcnt vmcnt(4)
	v_mul_f64 v[14:15], v[114:115], v[42:43]
	v_add_f64 v[8:9], v[84:85], -v[8:9]
	v_add_f64 v[10:11], v[86:87], -v[10:11]
	v_fma_f64 v[12:13], v[76:77], v[16:17], -v[12:13]
	v_fma_f64 v[14:15], v[78:79], v[40:41], -v[14:15]
	v_fma_f64 v[28:29], v[86:87], 2.0, -v[10:11]
	s_waitcnt vmcnt(3)
	v_mul_f64 v[20:21], v[116:117], v[46:47]
	s_waitcnt vmcnt(2)
	v_mul_f64 v[22:23], v[118:119], v[50:51]
	v_add_f64 v[12:13], v[88:89], -v[12:13]
	v_add_f64 v[14:15], v[90:91], -v[14:15]
	v_fma_f64 v[20:21], v[72:73], v[44:45], -v[20:21]
	v_fma_f64 v[22:23], v[74:75], v[48:49], -v[22:23]
	v_fma_f64 v[30:31], v[88:89], 2.0, -v[12:13]
	s_waitcnt vmcnt(1)
	v_mul_f64 v[24:25], v[120:121], v[102:103]
	s_waitcnt vmcnt(0)
	v_mul_f64 v[26:27], v[122:123], v[106:107]
	v_fma_f64 v[32:33], v[90:91], 2.0, -v[14:15]
	v_add_f64 v[20:21], v[92:93], -v[20:21]
	v_add_f64 v[22:23], v[94:95], -v[22:23]
	v_fma_f64 v[24:25], v[68:69], v[100:101], -v[24:25]
	v_fma_f64 v[26:27], v[70:71], v[104:105], -v[26:27]
	v_fma_f64 v[34:35], v[92:93], 2.0, -v[20:21]
	v_fma_f64 v[36:37], v[94:95], 2.0, -v[22:23]
	v_add_u32_e32 v92, 0x400, v136
	v_add_f64 v[24:25], v[96:97], -v[24:25]
	v_add_f64 v[134:135], v[98:99], -v[26:27]
	v_fma_f64 v[26:27], v[84:85], 2.0, -v[8:9]
	ds_write2_b64 v145, v[26:27], v[8:9] offset1:17
	ds_write2_b64 v146, v[28:29], v[10:11] offset1:17
	;; [unrolled: 1-line block ×4, first 2 shown]
	v_fma_f64 v[38:39], v[96:97], 2.0, -v[24:25]
	v_fma_f64 v[84:85], v[98:99], 2.0, -v[134:135]
	v_mul_u32_u24_e32 v8, 0x110, v149
	v_lshlrev_b32_sdwa v9, v157, v150 dst_sel:DWORD dst_unused:UNUSED_PAD src0_sel:DWORD src1_sel:BYTE_0
	v_add3_u32 v88, 0, v8, v9
	v_mul_u32_u24_e32 v8, 0x110, v151
	v_lshlrev_b32_e32 v9, 3, v152
	v_add3_u32 v89, 0, v8, v9
	v_mul_u32_u24_e32 v8, 0x110, v153
	v_lshlrev_b32_e32 v9, 3, v154
	;; [unrolled: 3-line block ×3, first 2 shown]
	v_add3_u32 v91, 0, v8, v9
	ds_write2_b64 v88, v[34:35], v[20:21] offset1:17
	ds_write2_b64 v89, v[36:37], v[22:23] offset1:17
	ds_write2_b64 v90, v[38:39], v[24:25] offset1:17
	ds_write2_b64 v91, v[84:85], v[134:135] offset1:17
	s_waitcnt lgkmcnt(0)
	; wave barrier
	s_waitcnt lgkmcnt(0)
	ds_read2_b64 v[20:23], v136 offset1:51
	ds_read2_b64 v[8:11], v92 offset0:76 offset1:144
	ds_read2_b64 v[36:39], v144 offset0:32 offset1:83
	ds_read2_b64 v[32:35], v127 offset0:67 offset1:118
	ds_read2_b64 v[12:15], v136 offset0:102 offset1:153
	ds_read2_b64 v[28:31], v144 offset0:134 offset1:185
	ds_read2_b64 v[24:27], v127 offset0:169 offset1:220
	ds_read_b64 v[86:87], v136 offset:5984
                                        ; implicit-def: $vgpr84_vgpr85
	s_and_saveexec_b64 s[2:3], s[0:1]
	s_cbranch_execz .LBB0_17
; %bb.16:
	ds_read_b64 v[134:135], v136 offset:2040
	ds_read_b64 v[130:131], v136 offset:4216
	;; [unrolled: 1-line block ×3, first 2 shown]
.LBB0_17:
	s_or_b64 exec, exec, s[2:3]
	v_mul_f64 v[2:3], v[80:81], v[2:3]
	v_mul_f64 v[6:7], v[82:83], v[6:7]
	;; [unrolled: 1-line block ×8, first 2 shown]
	v_fma_f64 v[0:1], v[108:109], v[0:1], v[2:3]
	v_fma_f64 v[2:3], v[110:111], v[4:5], v[6:7]
	;; [unrolled: 1-line block ×8, first 2 shown]
	v_add_f64 v[0:1], v[52:53], -v[0:1]
	v_add_f64 v[2:3], v[54:55], -v[2:3]
	;; [unrolled: 1-line block ×8, first 2 shown]
	v_fma_f64 v[42:43], v[52:53], 2.0, -v[0:1]
	v_fma_f64 v[44:45], v[54:55], 2.0, -v[2:3]
	;; [unrolled: 1-line block ×8, first 2 shown]
	s_waitcnt lgkmcnt(0)
	; wave barrier
	s_waitcnt lgkmcnt(0)
	ds_write2_b64 v145, v[42:43], v[0:1] offset1:17
	ds_write2_b64 v146, v[44:45], v[2:3] offset1:17
	;; [unrolled: 1-line block ×8, first 2 shown]
	v_add_u32_e32 v40, 0x1000, v136
	v_add_u32_e32 v41, 0x800, v136
	s_waitcnt lgkmcnt(0)
	; wave barrier
	s_waitcnt lgkmcnt(0)
	ds_read2_b64 v[16:19], v136 offset1:51
	ds_read2_b64 v[0:3], v92 offset0:76 offset1:144
	ds_read2_b64 v[52:55], v40 offset0:32 offset1:83
	;; [unrolled: 1-line block ×6, first 2 shown]
	ds_read_b64 v[58:59], v136 offset:5984
                                        ; implicit-def: $vgpr56_vgpr57
	s_and_saveexec_b64 s[2:3], s[0:1]
	s_cbranch_execz .LBB0_19
; %bb.18:
	ds_read_b64 v[68:69], v136 offset:2040
	ds_read_b64 v[132:133], v136 offset:4216
	;; [unrolled: 1-line block ×3, first 2 shown]
.LBB0_19:
	s_or_b64 exec, exec, s[2:3]
	v_subrev_u32_e32 v60, 34, v126
	v_cmp_gt_u32_e64 s[2:3], 34, v126
	v_cndmask_b32_e64 v127, v60, v126, s[2:3]
	v_lshlrev_b32_e32 v60, 1, v127
	v_mov_b32_e32 v61, 0
	v_lshlrev_b64 v[60:61], 4, v[60:61]
	v_mov_b32_e32 v62, s13
	v_add_co_u32_e64 v70, s[2:3], s12, v60
	v_addc_co_u32_e64 v71, s[2:3], v62, v61, s[2:3]
	s_movk_i32 s2, 0xf1
	global_load_dwordx4 v[60:63], v[70:71], off offset:288
	global_load_dwordx4 v[64:67], v[70:71], off offset:272
	v_mul_lo_u16_sdwa v70, v143, s2 dst_sel:DWORD dst_unused:UNUSED_PAD src0_sel:BYTE_0 src1_sel:DWORD
	v_lshrrev_b16_e32 v160, 13, v70
	v_mul_lo_u16_e32 v70, 34, v160
	v_sub_u16_e32 v161, v143, v70
	v_mov_b32_e32 v70, 5
	v_lshlrev_b32_sdwa v71, v70, v161 dst_sel:DWORD dst_unused:UNUSED_PAD src0_sel:DWORD src1_sel:BYTE_0
	global_load_dwordx4 v[76:79], v71, s[12:13] offset:288
	global_load_dwordx4 v[72:75], v71, s[12:13] offset:272
	v_mul_lo_u16_sdwa v71, v142, s2 dst_sel:DWORD dst_unused:UNUSED_PAD src0_sel:BYTE_0 src1_sel:DWORD
	v_lshrrev_b16_e32 v162, 13, v71
	v_mul_lo_u16_e32 v71, 34, v162
	v_sub_u16_e32 v163, v142, v71
	v_lshlrev_b32_sdwa v71, v70, v163 dst_sel:DWORD dst_unused:UNUSED_PAD src0_sel:DWORD src1_sel:BYTE_0
	global_load_dwordx4 v[80:83], v71, s[12:13] offset:288
	global_load_dwordx4 v[88:91], v71, s[12:13] offset:272
	v_mul_lo_u16_sdwa v71, v141, s2 dst_sel:DWORD dst_unused:UNUSED_PAD src0_sel:BYTE_0 src1_sel:DWORD
	v_lshrrev_b16_e32 v164, 13, v71
	v_mul_lo_u16_e32 v71, 34, v164
	v_sub_u16_e32 v165, v141, v71
	;; [unrolled: 7-line block ×3, first 2 shown]
	v_lshlrev_b32_sdwa v70, v70, v167 dst_sel:DWORD dst_unused:UNUSED_PAD src0_sel:DWORD src1_sel:BYTE_0
	global_load_dwordx4 v[100:103], v70, s[12:13] offset:288
	global_load_dwordx4 v[104:107], v70, s[12:13] offset:272
	s_mov_b32 s2, 0xf0f1
	v_mul_u32_u24_sdwa v70, v139, s2 dst_sel:DWORD dst_unused:UNUSED_PAD src0_sel:WORD_0 src1_sel:DWORD
	v_lshrrev_b32_e32 v70, 21, v70
	v_mul_lo_u16_e32 v70, 34, v70
	v_sub_u16_e32 v168, v139, v70
	v_lshlrev_b32_e32 v70, 5, v168
	global_load_dwordx4 v[108:111], v70, s[12:13] offset:272
	global_load_dwordx4 v[112:115], v70, s[12:13] offset:288
	s_mov_b32 s6, 0xe8584caa
	s_mov_b32 s7, 0x3febb67a
	;; [unrolled: 1-line block ×4, first 2 shown]
	v_cmp_lt_u32_e64 s[2:3], 33, v126
	s_waitcnt lgkmcnt(0)
	; wave barrier
	s_waitcnt vmcnt(11) lgkmcnt(0)
	v_mul_f64 v[116:117], v[52:53], v[62:63]
	s_waitcnt vmcnt(10)
	v_mul_f64 v[70:71], v[2:3], v[66:67]
	v_mul_f64 v[66:67], v[10:11], v[66:67]
	;; [unrolled: 1-line block ×3, first 2 shown]
	s_waitcnt vmcnt(9)
	v_mul_f64 v[122:123], v[54:55], v[78:79]
	s_waitcnt vmcnt(8)
	v_mul_f64 v[120:121], v[48:49], v[74:75]
	v_mul_f64 v[74:75], v[32:33], v[74:75]
	;; [unrolled: 1-line block ×3, first 2 shown]
	v_fma_f64 v[62:63], v[10:11], v[64:65], -v[70:71]
	v_fma_f64 v[66:67], v[2:3], v[64:65], v[66:67]
	v_fma_f64 v[70:71], v[36:37], v[60:61], -v[116:117]
	s_waitcnt vmcnt(6)
	v_mul_f64 v[144:145], v[50:51], v[90:91]
	v_mul_f64 v[90:91], v[34:35], v[90:91]
	v_fma_f64 v[64:65], v[32:33], v[72:73], -v[120:121]
	v_fma_f64 v[74:75], v[48:49], v[72:73], v[74:75]
	v_fma_f64 v[72:73], v[38:39], v[76:77], -v[122:123]
	s_waitcnt vmcnt(5)
	v_mul_f64 v[150:151], v[46:47], v[94:95]
	v_mul_f64 v[94:95], v[30:31], v[94:95]
	;; [unrolled: 1-line block ×4, first 2 shown]
	s_waitcnt vmcnt(4)
	v_mul_f64 v[148:149], v[40:41], v[98:99]
	v_fma_f64 v[52:53], v[52:53], v[60:61], v[118:119]
	s_waitcnt vmcnt(3)
	v_mul_f64 v[154:155], v[58:59], v[102:103]
	s_waitcnt vmcnt(2)
	v_mul_f64 v[152:153], v[42:43], v[106:107]
	v_mul_f64 v[106:107], v[26:27], v[106:107]
	;; [unrolled: 1-line block ×3, first 2 shown]
	v_fma_f64 v[60:61], v[54:55], v[76:77], v[78:79]
	v_fma_f64 v[10:11], v[46:47], v[92:93], v[94:95]
	v_add_f64 v[38:39], v[62:63], v[70:71]
	v_add_f64 v[46:47], v[64:65], v[72:73]
	v_fma_f64 v[48:49], v[34:35], v[88:89], -v[144:145]
	v_fma_f64 v[54:55], v[50:51], v[88:89], v[90:91]
	v_fma_f64 v[50:51], v[28:29], v[80:81], -v[146:147]
	v_mul_f64 v[98:99], v[24:25], v[98:99]
	s_waitcnt vmcnt(0)
	v_mul_f64 v[158:159], v[56:57], v[114:115]
	v_mul_f64 v[114:115], v[84:85], v[114:115]
	v_fma_f64 v[2:3], v[44:45], v[80:81], v[82:83]
	v_fma_f64 v[28:29], v[24:25], v[96:97], -v[148:149]
	v_fma_f64 v[30:31], v[30:31], v[92:93], -v[150:151]
	;; [unrolled: 1-line block ×3, first 2 shown]
	v_fma_f64 v[44:45], v[42:43], v[104:105], v[106:107]
	v_fma_f64 v[42:43], v[86:87], v[100:101], -v[154:155]
	v_fma_f64 v[24:25], v[58:59], v[100:101], v[102:103]
	v_add_f64 v[58:59], v[20:21], v[62:63]
	v_add_f64 v[76:77], v[66:67], -v[52:53]
	v_add_f64 v[78:79], v[22:23], v[64:65]
	v_fma_f64 v[20:21], v[38:39], -0.5, v[20:21]
	v_add_f64 v[80:81], v[74:75], -v[60:61]
	v_fma_f64 v[22:23], v[46:47], -0.5, v[22:23]
	v_add_f64 v[46:47], v[48:49], v[50:51]
	v_fma_f64 v[40:41], v[40:41], v[96:97], v[98:99]
	v_fma_f64 v[38:39], v[56:57], v[112:113], v[114:115]
	v_add_f64 v[56:57], v[28:29], v[30:31]
	v_fma_f64 v[34:35], v[84:85], v[112:113], -v[158:159]
	v_fma_f64 v[82:83], v[76:77], s[6:7], v[20:21]
	v_fma_f64 v[20:21], v[76:77], s[8:9], v[20:21]
	;; [unrolled: 1-line block ×4, first 2 shown]
	v_add_f64 v[80:81], v[26:27], v[42:43]
	v_add_f64 v[84:85], v[12:13], v[48:49]
	v_fma_f64 v[12:13], v[46:47], -0.5, v[12:13]
	v_add_f64 v[46:47], v[54:55], -v[2:3]
	v_mul_f64 v[156:157], v[132:133], v[110:111]
	v_mul_f64 v[110:111], v[130:131], v[110:111]
	v_add_f64 v[58:59], v[58:59], v[70:71]
	v_add_f64 v[86:87], v[14:15], v[28:29]
	v_fma_f64 v[14:15], v[56:57], -0.5, v[14:15]
	v_add_f64 v[56:57], v[40:41], -v[10:11]
	v_add_f64 v[88:89], v[8:9], v[26:27]
	v_fma_f64 v[8:9], v[80:81], -0.5, v[8:9]
	v_add_f64 v[80:81], v[44:45], -v[24:25]
	v_add_f64 v[78:79], v[78:79], v[72:73]
	v_add_f64 v[84:85], v[84:85], v[50:51]
	v_fma_f64 v[90:91], v[46:47], s[6:7], v[12:13]
	v_fma_f64 v[12:13], v[46:47], s[8:9], v[12:13]
	v_mov_b32_e32 v46, 0x330
	v_cndmask_b32_e64 v46, 0, v46, s[2:3]
	v_lshlrev_b32_e32 v47, 3, v127
	v_add3_u32 v47, 0, v46, v47
	v_fma_f64 v[32:33], v[130:131], v[108:109], -v[156:157]
	v_fma_f64 v[36:37], v[132:133], v[108:109], v[110:111]
	v_add_f64 v[86:87], v[86:87], v[30:31]
	v_fma_f64 v[92:93], v[56:57], s[6:7], v[14:15]
	v_add_f64 v[88:89], v[88:89], v[42:43]
	v_fma_f64 v[94:95], v[80:81], s[6:7], v[8:9]
	ds_write2_b64 v47, v[58:59], v[82:83] offset1:34
	ds_write_b64 v47, v[20:21] offset:544
	v_mov_b32_e32 v21, 3
	v_fma_f64 v[14:15], v[56:57], s[8:9], v[14:15]
	v_fma_f64 v[8:9], v[80:81], s[8:9], v[8:9]
	v_mul_u32_u24_e32 v20, 0x330, v160
	v_lshlrev_b32_sdwa v46, v21, v161 dst_sel:DWORD dst_unused:UNUSED_PAD src0_sel:DWORD src1_sel:BYTE_0
	v_add3_u32 v56, 0, v20, v46
	ds_write2_b64 v56, v[78:79], v[76:77] offset1:34
	ds_write_b64 v56, v[22:23] offset:544
	v_mul_u32_u24_e32 v20, 0x330, v162
	v_lshlrev_b32_sdwa v22, v21, v163 dst_sel:DWORD dst_unused:UNUSED_PAD src0_sel:DWORD src1_sel:BYTE_0
	v_add3_u32 v57, 0, v20, v22
	ds_write2_b64 v57, v[84:85], v[90:91] offset1:34
	ds_write_b64 v57, v[12:13] offset:544
	v_mul_u32_u24_e32 v12, 0x330, v164
	v_lshlrev_b32_sdwa v13, v21, v165 dst_sel:DWORD dst_unused:UNUSED_PAD src0_sel:DWORD src1_sel:BYTE_0
	v_add3_u32 v58, 0, v12, v13
	v_mul_u32_u24_e32 v12, 0x330, v166
	v_lshlrev_b32_sdwa v13, v21, v167 dst_sel:DWORD dst_unused:UNUSED_PAD src0_sel:DWORD src1_sel:BYTE_0
	v_add3_u32 v59, 0, v12, v13
	v_lshl_add_u32 v46, v168, 3, 0
	ds_write2_b64 v58, v[86:87], v[92:93] offset1:34
	ds_write_b64 v58, v[14:15] offset:544
	ds_write2_b64 v59, v[88:89], v[94:95] offset1:34
	ds_write_b64 v59, v[8:9] offset:544
	s_and_saveexec_b64 s[2:3], s[0:1]
	s_cbranch_execz .LBB0_21
; %bb.20:
	v_add_f64 v[8:9], v[32:33], v[34:35]
	v_add_f64 v[12:13], v[36:37], -v[38:39]
	v_add_f64 v[14:15], v[134:135], v[32:33]
	v_fma_f64 v[8:9], v[8:9], -0.5, v[134:135]
	v_add_f64 v[14:15], v[14:15], v[34:35]
	v_fma_f64 v[20:21], v[12:13], s[6:7], v[8:9]
	v_fma_f64 v[8:9], v[12:13], s[8:9], v[8:9]
	v_add_u32_e32 v12, 0x1000, v46
	ds_write2_b64 v12, v[14:15], v[20:21] offset0:202 offset1:236
	ds_write_b64 v46, v[8:9] offset:6256
.LBB0_21:
	s_or_b64 exec, exec, s[2:3]
	v_add_f64 v[8:9], v[66:67], v[52:53]
	v_add_f64 v[12:13], v[74:75], v[60:61]
	;; [unrolled: 1-line block ×3, first 2 shown]
	v_add_f64 v[20:21], v[62:63], -v[70:71]
	v_add_f64 v[22:23], v[18:19], v[74:75]
	v_add_f64 v[62:63], v[40:41], v[10:11]
	s_waitcnt lgkmcnt(0)
	; wave barrier
	s_waitcnt lgkmcnt(0)
	v_fma_f64 v[8:9], v[8:9], -0.5, v[16:17]
	v_add_f64 v[16:17], v[64:65], -v[72:73]
	v_fma_f64 v[12:13], v[12:13], -0.5, v[18:19]
	v_add_f64 v[18:19], v[54:55], v[2:3]
	v_add_f64 v[64:65], v[44:45], v[24:25]
	;; [unrolled: 1-line block ×4, first 2 shown]
	v_fma_f64 v[6:7], v[62:63], -0.5, v[6:7]
	v_fma_f64 v[66:67], v[20:21], s[8:9], v[8:9]
	v_fma_f64 v[70:71], v[20:21], s[6:7], v[8:9]
	v_fma_f64 v[72:73], v[16:17], s[8:9], v[12:13]
	v_fma_f64 v[74:75], v[16:17], s[6:7], v[12:13]
	v_add_f64 v[8:9], v[4:5], v[54:55]
	v_fma_f64 v[4:5], v[18:19], -0.5, v[4:5]
	v_add_f64 v[12:13], v[48:49], -v[50:51]
	v_add_f64 v[16:17], v[28:29], -v[30:31]
	v_add_f64 v[18:19], v[0:1], v[44:45]
	v_fma_f64 v[0:1], v[64:65], -0.5, v[0:1]
	v_add_f64 v[20:21], v[26:27], -v[42:43]
	v_add_u32_e32 v40, 0x800, v136
	v_add_u32_e32 v41, 0xc00, v136
	;; [unrolled: 1-line block ×3, first 2 shown]
	v_add_f64 v[60:61], v[22:23], v[60:61]
	v_add_f64 v[43:44], v[8:9], v[2:3]
	v_fma_f64 v[48:49], v[12:13], s[8:9], v[4:5]
	v_fma_f64 v[50:51], v[12:13], s[6:7], v[4:5]
	v_add_f64 v[54:55], v[14:15], v[10:11]
	v_fma_f64 v[62:63], v[16:17], s[8:9], v[6:7]
	v_fma_f64 v[64:65], v[16:17], s[6:7], v[6:7]
	;; [unrolled: 3-line block ×3, first 2 shown]
	ds_read2_b64 v[12:15], v136 offset1:51
	ds_read2_b64 v[24:27], v40 offset0:152 offset1:203
	ds_read2_b64 v[8:11], v136 offset0:102 offset1:153
	;; [unrolled: 1-line block ×7, first 2 shown]
	s_waitcnt lgkmcnt(0)
	; wave barrier
	s_waitcnt lgkmcnt(0)
	ds_write2_b64 v47, v[52:53], v[66:67] offset1:34
	ds_write_b64 v47, v[70:71] offset:544
	ds_write2_b64 v56, v[60:61], v[72:73] offset1:34
	ds_write_b64 v56, v[74:75] offset:544
	;; [unrolled: 2-line block ×5, first 2 shown]
	s_and_saveexec_b64 s[2:3], s[0:1]
	s_cbranch_execz .LBB0_23
; %bb.22:
	v_add_f64 v[43:44], v[36:37], v[38:39]
	v_add_f64 v[36:37], v[68:69], v[36:37]
	v_add_f64 v[32:33], v[32:33], -v[34:35]
	s_mov_b32 s1, 0xbfebb67a
	s_mov_b32 s0, 0xe8584caa
	v_fma_f64 v[34:35], v[43:44], -0.5, v[68:69]
	v_add_f64 v[36:37], v[36:37], v[38:39]
	v_fma_f64 v[38:39], v[32:33], s[0:1], v[34:35]
	s_mov_b32 s1, 0x3febb67a
	v_fma_f64 v[32:33], v[32:33], s[0:1], v[34:35]
	v_add_u32_e32 v34, 0x1000, v46
	ds_write2_b64 v34, v[36:37], v[38:39] offset0:202 offset1:236
	ds_write_b64 v46, v[32:33] offset:6256
.LBB0_23:
	s_or_b64 exec, exec, s[2:3]
	v_mov_b32_e32 v127, 0
	v_lshlrev_b64 v[32:33], 4, v[126:127]
	v_mov_b32_e32 v34, s13
	v_add_co_u32_e64 v32, s[0:1], s12, v32
	v_addc_co_u32_e64 v33, s[0:1], v34, v33, s[0:1]
	s_movk_i32 s0, 0xa1
	v_mul_lo_u16_sdwa v38, v140, s0 dst_sel:DWORD dst_unused:UNUSED_PAD src0_sel:BYTE_0 src1_sel:DWORD
	s_mov_b32 s0, 0xa0a1
	v_mul_u32_u24_sdwa v47, v139, s0 dst_sel:DWORD dst_unused:UNUSED_PAD src0_sel:WORD_0 src1_sel:DWORD
	v_lshrrev_b32_e32 v47, 22, v47
	v_lshrrev_b16_e32 v38, 14, v38
	v_mul_lo_u16_e32 v55, 0x66, v47
	v_mul_u32_u24_sdwa v47, v138, s0 dst_sel:DWORD dst_unused:UNUSED_PAD src0_sel:WORD_0 src1_sel:DWORD
	v_mul_lo_u16_e32 v38, 0x66, v38
	v_lshrrev_b32_e32 v47, 22, v47
	v_mul_u32_u24_sdwa v48, v137, s0 dst_sel:DWORD dst_unused:UNUSED_PAD src0_sel:WORD_0 src1_sel:DWORD
	v_sub_u16_e32 v38, v140, v38
	v_mul_lo_u16_e32 v47, 0x66, v47
	v_lshrrev_b32_e32 v48, 22, v48
	s_waitcnt lgkmcnt(0)
	; wave barrier
	s_waitcnt lgkmcnt(0)
	global_load_dwordx4 v[34:37], v[32:33], off offset:1360
	global_load_dwordx4 v[43:46], v[32:33], off offset:2176
	v_and_b32_e32 v38, 0xff, v38
	v_sub_u16_e32 v113, v138, v47
	v_mul_lo_u16_e32 v48, 0x66, v48
	v_lshlrev_b32_e32 v39, 4, v38
	v_lshlrev_b32_e32 v47, 4, v113
	v_sub_u16_e32 v114, v137, v48
	v_sub_u16_e32 v95, v139, v55
	global_load_dwordx4 v[47:50], v47, s[12:13] offset:1360
	v_lshlrev_b32_e32 v51, 4, v114
	global_load_dwordx4 v[55:58], v39, s[12:13] offset:1360
	v_lshlrev_b32_e32 v39, 4, v95
	global_load_dwordx4 v[51:54], v51, s[12:13] offset:1360
	v_lshl_add_u32 v38, v38, 3, 0
	global_load_dwordx4 v[59:62], v39, s[12:13] offset:1360
	ds_read2_b64 v[63:66], v136 offset1:51
	ds_read2_b64 v[67:70], v40 offset0:152 offset1:203
	ds_read2_b64 v[71:74], v136 offset0:102 offset1:153
	;; [unrolled: 1-line block ×7, first 2 shown]
	v_add_u32_e32 v116, 0x800, v38
	v_lshl_add_u32 v115, v95, 3, 0
	s_waitcnt lgkmcnt(0)
	; wave barrier
	s_waitcnt lgkmcnt(0)
	s_movk_i32 s0, 0x660
	s_waitcnt vmcnt(5)
	v_mul_f64 v[38:39], v[67:68], v[36:37]
	s_waitcnt vmcnt(4)
	v_mul_f64 v[97:98], v[69:70], v[45:46]
	v_mul_f64 v[101:102], v[75:76], v[36:37]
	;; [unrolled: 1-line block ×7, first 2 shown]
	v_fma_f64 v[24:25], v[24:25], v[34:35], -v[38:39]
	s_waitcnt vmcnt(3)
	v_mul_f64 v[105:106], v[91:92], v[49:50]
	v_mul_f64 v[49:50], v[28:29], v[49:50]
	s_waitcnt vmcnt(2)
	v_mul_f64 v[109:110], v[83:84], v[57:58]
	v_mul_f64 v[57:58], v[16:17], v[57:58]
	s_waitcnt vmcnt(1)
	v_mul_f64 v[107:108], v[93:94], v[53:54]
	v_fma_f64 v[26:27], v[26:27], v[43:44], -v[97:98]
	s_waitcnt vmcnt(0)
	v_mul_f64 v[111:112], v[85:86], v[61:62]
	v_mul_f64 v[61:62], v[18:19], v[61:62]
	v_fma_f64 v[20:21], v[20:21], v[34:35], -v[101:102]
	v_fma_f64 v[22:23], v[22:23], v[43:44], -v[103:104]
	v_mul_f64 v[53:54], v[30:31], v[53:54]
	v_fma_f64 v[16:17], v[16:17], v[55:56], -v[109:110]
	v_fma_f64 v[38:39], v[67:68], v[34:35], v[95:96]
	v_fma_f64 v[67:68], v[69:70], v[43:44], v[99:100]
	v_fma_f64 v[28:29], v[28:29], v[47:48], -v[105:106]
	v_fma_f64 v[30:31], v[30:31], v[51:52], -v[107:108]
	;; [unrolled: 1-line block ×3, first 2 shown]
	v_fma_f64 v[34:35], v[75:76], v[34:35], v[36:37]
	v_fma_f64 v[36:37], v[77:78], v[43:44], v[45:46]
	;; [unrolled: 1-line block ×5, first 2 shown]
	v_add_f64 v[24:25], v[12:13], -v[24:25]
	v_add_f64 v[26:27], v[14:15], -v[26:27]
	;; [unrolled: 1-line block ×4, first 2 shown]
	v_fma_f64 v[45:46], v[93:94], v[51:52], v[53:54]
	v_add_f64 v[16:17], v[0:1], -v[16:17]
	v_add_f64 v[38:39], v[63:64], -v[38:39]
	;; [unrolled: 1-line block ×10, first 2 shown]
	v_fma_f64 v[12:13], v[12:13], 2.0, -v[24:25]
	v_fma_f64 v[14:15], v[14:15], 2.0, -v[26:27]
	v_add_f64 v[43:44], v[87:88], -v[43:44]
	v_fma_f64 v[8:9], v[8:9], 2.0, -v[20:21]
	v_fma_f64 v[10:11], v[10:11], 2.0, -v[22:23]
	v_add_f64 v[45:46], v[89:90], -v[45:46]
	v_fma_f64 v[0:1], v[0:1], 2.0, -v[16:17]
	v_fma_f64 v[53:54], v[63:64], 2.0, -v[38:39]
	;; [unrolled: 1-line block ×9, first 2 shown]
	ds_write2_b64 v136, v[24:25], v[26:27] offset0:102 offset1:153
	ds_write2_b64 v40, v[20:21], v[22:23] offset0:50 offset1:101
	v_fma_f64 v[67:68], v[81:82], 2.0, -v[49:50]
	ds_write2_b64 v136, v[12:13], v[14:15] offset1:51
	ds_write2_b64 v136, v[8:9], v[10:11] offset0:204 offset1:255
	ds_write2_b64 v116, v[0:1], v[16:17] offset0:152 offset1:254
	v_lshl_add_u32 v0, v113, 3, 0
	v_fma_f64 v[61:62], v[87:88], 2.0, -v[43:44]
	v_add_u32_e32 v70, 0x1000, v0
	v_lshl_add_u32 v0, v114, 3, 0
	v_fma_f64 v[63:64], v[89:90], 2.0, -v[45:46]
	v_add_u32_e32 v69, 0x800, v115
	v_add_u32_e32 v71, 0x1000, v0
	ds_write2_b64 v69, v[2:3], v[18:19] offset0:152 offset1:254
	ds_write2_b64 v70, v[4:5], v[28:29] offset0:100 offset1:202
	ds_write2_b64 v71, v[6:7], v[30:31] offset0:100 offset1:202
	s_waitcnt lgkmcnt(0)
	; wave barrier
	s_waitcnt lgkmcnt(0)
	ds_read2_b64 v[0:3], v136 offset1:51
	ds_read2_b64 v[4:7], v40 offset0:152 offset1:203
	ds_read2_b64 v[8:11], v136 offset0:102 offset1:153
	;; [unrolled: 1-line block ×7, first 2 shown]
	s_waitcnt lgkmcnt(0)
	; wave barrier
	s_waitcnt lgkmcnt(0)
	ds_write2_b64 v136, v[53:54], v[55:56] offset1:51
	ds_write2_b64 v136, v[38:39], v[51:52] offset0:102 offset1:153
	ds_write2_b64 v136, v[57:58], v[59:60] offset0:204 offset1:255
	;; [unrolled: 1-line block ×7, first 2 shown]
	v_add_co_u32_e64 v34, s[0:1], s0, v32
	v_addc_co_u32_e64 v35, s[0:1], 0, v33, s[0:1]
	s_movk_i32 s0, 0x990
	s_waitcnt lgkmcnt(0)
	; wave barrier
	s_waitcnt lgkmcnt(0)
	global_load_dwordx4 v[43:46], v[32:33], off offset:2992
	global_load_dwordx4 v[47:50], v[32:33], off offset:3808
	v_add_co_u32_e64 v36, s[0:1], s0, v32
	v_addc_co_u32_e64 v37, s[0:1], 0, v33, s[0:1]
	global_load_dwordx4 v[51:54], v[34:35], off offset:2992
	global_load_dwordx4 v[55:58], v[36:37], off offset:2992
	ds_read2_b64 v[59:62], v136 offset1:51
	ds_read2_b64 v[63:66], v40 offset0:152 offset1:203
	ds_read2_b64 v[67:70], v136 offset0:102 offset1:153
	;; [unrolled: 1-line block ×7, first 2 shown]
	s_waitcnt lgkmcnt(0)
	; wave barrier
	s_waitcnt vmcnt(3) lgkmcnt(0)
	v_mul_f64 v[38:39], v[63:64], v[45:46]
	s_waitcnt vmcnt(2)
	v_mul_f64 v[93:94], v[65:66], v[49:50]
	v_mul_f64 v[105:106], v[79:80], v[45:46]
	;; [unrolled: 1-line block ×5, first 2 shown]
	s_waitcnt vmcnt(1)
	v_mul_f64 v[97:98], v[71:72], v[53:54]
	s_waitcnt vmcnt(0)
	v_mul_f64 v[101:102], v[73:74], v[57:58]
	v_mul_f64 v[109:110], v[87:88], v[53:54]
	;; [unrolled: 1-line block ×3, first 2 shown]
	v_fma_f64 v[4:5], v[4:5], v[43:44], -v[38:39]
	v_fma_f64 v[6:7], v[6:7], v[47:48], -v[93:94]
	v_mul_f64 v[99:100], v[12:13], v[53:54]
	v_mul_f64 v[103:104], v[14:15], v[57:58]
	v_fma_f64 v[12:13], v[12:13], v[51:52], -v[97:98]
	v_fma_f64 v[14:15], v[14:15], v[55:56], -v[101:102]
	v_mul_f64 v[45:46], v[20:21], v[45:46]
	v_mul_f64 v[49:50], v[22:23], v[49:50]
	;; [unrolled: 4-line block ×3, first 2 shown]
	v_fma_f64 v[28:29], v[28:29], v[51:52], -v[109:110]
	v_fma_f64 v[30:31], v[30:31], v[55:56], -v[111:112]
	v_add_f64 v[4:5], v[0:1], -v[4:5]
	v_add_f64 v[6:7], v[2:3], -v[6:7]
	;; [unrolled: 1-line block ×4, first 2 shown]
	v_fma_f64 v[38:39], v[63:64], v[43:44], v[91:92]
	v_fma_f64 v[63:64], v[65:66], v[47:48], v[95:96]
	v_add_f64 v[20:21], v[16:17], -v[20:21]
	v_add_f64 v[22:23], v[18:19], -v[22:23]
	v_fma_f64 v[65:66], v[71:72], v[51:52], v[99:100]
	v_fma_f64 v[71:72], v[73:74], v[55:56], v[103:104]
	v_add_f64 v[28:29], v[24:25], -v[28:29]
	v_add_f64 v[30:31], v[26:27], -v[30:31]
	v_fma_f64 v[43:44], v[79:80], v[43:44], v[45:46]
	v_fma_f64 v[45:46], v[81:82], v[47:48], v[49:50]
	v_fma_f64 v[0:1], v[0:1], 2.0, -v[4:5]
	v_fma_f64 v[2:3], v[2:3], 2.0, -v[6:7]
	v_fma_f64 v[47:48], v[87:88], v[51:52], v[53:54]
	v_fma_f64 v[49:50], v[89:90], v[55:56], v[57:58]
	v_fma_f64 v[8:9], v[8:9], 2.0, -v[12:13]
	v_fma_f64 v[10:11], v[10:11], 2.0, -v[14:15]
	v_add_f64 v[38:39], v[59:60], -v[38:39]
	v_add_f64 v[51:52], v[61:62], -v[63:64]
	v_fma_f64 v[16:17], v[16:17], 2.0, -v[20:21]
	v_fma_f64 v[18:19], v[18:19], 2.0, -v[22:23]
	v_add_f64 v[53:54], v[67:68], -v[65:66]
	v_add_f64 v[55:56], v[69:70], -v[71:72]
	;; [unrolled: 4-line block ×3, first 2 shown]
	ds_write2_b64 v136, v[0:1], v[2:3] offset1:51
	ds_write2_b64 v136, v[4:5], v[6:7] offset0:204 offset1:255
	ds_write2_b64 v136, v[8:9], v[10:11] offset0:102 offset1:153
	;; [unrolled: 1-line block ×7, first 2 shown]
	s_waitcnt lgkmcnt(0)
	; wave barrier
	s_waitcnt lgkmcnt(0)
	ds_read2_b64 v[0:3], v136 offset1:51
	ds_read2_b64 v[16:19], v40 offset0:152 offset1:203
	ds_read2_b64 v[4:7], v136 offset0:102 offset1:153
	;; [unrolled: 1-line block ×7, first 2 shown]
	v_add_f64 v[47:48], v[83:84], -v[47:48]
	v_add_f64 v[49:50], v[85:86], -v[49:50]
	v_fma_f64 v[57:58], v[59:60], 2.0, -v[38:39]
	v_fma_f64 v[59:60], v[61:62], 2.0, -v[51:52]
	;; [unrolled: 1-line block ×8, first 2 shown]
	s_waitcnt lgkmcnt(0)
	; wave barrier
	s_waitcnt lgkmcnt(0)
	ds_write2_b64 v136, v[57:58], v[59:60] offset1:51
	ds_write2_b64 v136, v[38:39], v[51:52] offset0:204 offset1:255
	ds_write2_b64 v136, v[61:62], v[63:64] offset0:102 offset1:153
	;; [unrolled: 1-line block ×7, first 2 shown]
	s_waitcnt lgkmcnt(0)
	; wave barrier
	s_waitcnt lgkmcnt(0)
	s_and_saveexec_b64 s[0:1], vcc
	s_cbranch_execz .LBB0_25
; %bb.24:
	v_add_co_u32_e32 v62, vcc, 0x330, v32
	v_addc_co_u32_e32 v63, vcc, 0, v33, vcc
	v_add_co_u32_e32 v58, vcc, 0x2000, v32
	v_addc_co_u32_e32 v59, vcc, 0, v33, vcc
	s_movk_i32 s0, 0x1000
	v_add_co_u32_e32 v36, vcc, s0, v36
	v_addc_co_u32_e32 v37, vcc, 0, v37, vcc
	v_add_co_u32_e32 v60, vcc, s0, v34
	v_addc_co_u32_e32 v61, vcc, 0, v35, vcc
	global_load_dwordx4 v[38:41], v[58:59], off offset:3776
	global_load_dwordx4 v[42:45], v[58:59], off offset:2960
	;; [unrolled: 1-line block ×3, first 2 shown]
	s_nop 0
	global_load_dwordx4 v[34:37], v[60:61], off offset:2160
	global_load_dwordx4 v[50:53], v[58:59], off offset:2144
	;; [unrolled: 1-line block ×3, first 2 shown]
	v_add_co_u32_e32 v58, vcc, s0, v62
	v_addc_co_u32_e32 v59, vcc, 0, v63, vcc
	v_add_co_u32_e32 v32, vcc, s0, v32
	v_addc_co_u32_e32 v33, vcc, 0, v33, vcc
	global_load_dwordx4 v[58:61], v[58:59], off offset:2160
	v_add_u32_e32 v94, 0x800, v136
	global_load_dwordx4 v[62:65], v[32:33], off offset:2160
	v_add_u32_e32 v90, 0x1000, v136
	v_add_u32_e32 v82, 0xc00, v136
	v_mul_lo_u32 v32, s5, v128
	v_mul_lo_u32 v33, s4, v129
	v_mad_u64_u32 v[98:99], s[0:1], s4, v128, 0
	ds_read2_b64 v[66:69], v136 offset0:204 offset1:255
	ds_read2_b64 v[70:73], v136 offset0:102 offset1:153
	ds_read2_b64 v[74:77], v136 offset1:51
	ds_read2_b64 v[78:81], v94 offset0:50 offset1:101
	ds_read2_b64 v[82:85], v82 offset0:126 offset1:177
	;; [unrolled: 1-line block ×5, first 2 shown]
	v_add3_u32 v99, v99, v33, v32
	s_waitcnt vmcnt(7) lgkmcnt(2)
	v_mul_f64 v[102:103], v[38:39], v[88:89]
	s_waitcnt vmcnt(4)
	v_mul_f64 v[100:101], v[34:35], v[82:83]
	v_mul_f64 v[32:33], v[46:47], v[84:85]
	;; [unrolled: 1-line block ×6, first 2 shown]
	s_waitcnt vmcnt(3) lgkmcnt(1)
	v_mul_f64 v[106:107], v[50:51], v[92:93]
	v_mul_f64 v[92:93], v[52:53], v[92:93]
	s_waitcnt vmcnt(2)
	v_mul_f64 v[108:109], v[54:55], v[90:91]
	v_mul_f64 v[84:85], v[48:49], v[84:85]
	;; [unrolled: 1-line block ×3, first 2 shown]
	s_waitcnt vmcnt(1) lgkmcnt(0)
	v_mul_f64 v[110:111], v[58:59], v[96:97]
	v_mul_f64 v[96:97], v[60:61], v[96:97]
	s_waitcnt vmcnt(0)
	v_mul_f64 v[112:113], v[62:63], v[94:95]
	v_mul_f64 v[94:95], v[64:65], v[94:95]
	v_fma_f64 v[32:33], v[26:27], v[48:49], v[32:33]
	v_fma_f64 v[36:37], v[24:25], v[36:37], v[100:101]
	v_fma_f64 v[24:25], v[24:25], v[34:35], -v[82:83]
	v_fma_f64 v[34:35], v[30:31], v[40:41], v[102:103]
	v_fma_f64 v[30:31], v[30:31], v[38:39], -v[88:89]
	;; [unrolled: 2-line block ×3, first 2 shown]
	v_fma_f64 v[42:43], v[22:23], v[50:51], -v[92:93]
	v_fma_f64 v[44:45], v[20:21], v[56:57], v[108:109]
	v_fma_f64 v[26:27], v[26:27], v[46:47], -v[84:85]
	v_fma_f64 v[40:41], v[22:23], v[52:53], v[106:107]
	v_fma_f64 v[48:49], v[18:19], v[60:61], v[110:111]
	v_fma_f64 v[50:51], v[18:19], v[58:59], -v[96:97]
	v_fma_f64 v[56:57], v[16:17], v[64:65], v[112:113]
	v_fma_f64 v[60:61], v[16:17], v[62:63], -v[94:95]
	v_fma_f64 v[46:47], v[20:21], v[54:55], -v[90:91]
	v_add_f64 v[18:19], v[72:73], -v[32:33]
	v_add_f64 v[20:21], v[4:5], -v[24:25]
	;; [unrolled: 1-line block ×11, first 2 shown]
	v_mad_u64_u32 v[64:65], s[0:1], s20, v126, 0
	v_add_f64 v[56:57], v[0:1], -v[60:61]
	v_add_f64 v[22:23], v[70:71], -v[36:37]
	v_mov_b32_e32 v60, v65
	v_fma_f64 v[52:53], v[10:11], 2.0, -v[32:33]
	v_fma_f64 v[10:11], v[66:67], 2.0, -v[38:39]
	v_mad_u64_u32 v[65:66], s[0:1], s21, v126, v[60:61]
	v_lshlrev_b64 v[66:67], 4, v[98:99]
	v_fma_f64 v[54:55], v[68:69], 2.0, -v[34:35]
	v_fma_f64 v[60:61], v[2:3], 2.0, -v[40:41]
	v_fma_f64 v[2:3], v[74:75], 2.0, -v[58:59]
	v_fma_f64 v[0:1], v[0:1], 2.0, -v[56:57]
	v_mov_b32_e32 v68, s11
	v_add_co_u32_e32 v69, vcc, s10, v66
	v_addc_co_u32_e32 v68, vcc, v68, v67, vcc
	v_lshlrev_b64 v[66:67], 4, v[124:125]
	v_fma_f64 v[44:45], v[6:7], 2.0, -v[16:17]
	v_fma_f64 v[6:7], v[70:71], 2.0, -v[22:23]
	v_add_co_u32_e32 v69, vcc, v69, v66
	v_add_u32_e32 v70, 0x198, v126
	v_addc_co_u32_e32 v68, vcc, v68, v67, vcc
	v_lshlrev_b64 v[64:65], 4, v[64:65]
	v_mad_u64_u32 v[66:67], s[0:1], s20, v70, 0
	v_add_co_u32_e32 v64, vcc, v69, v64
	v_addc_co_u32_e32 v65, vcc, v68, v65, vcc
	global_store_dwordx4 v[64:65], v[0:3], off
	v_add_f64 v[42:43], v[76:77], -v[48:49]
	v_mov_b32_e32 v0, v67
	v_mad_u64_u32 v[0:1], s[0:1], s21, v70, v[0:1]
	v_mad_u64_u32 v[1:2], s[0:1], s20, v143, 0
	v_mov_b32_e32 v67, v0
	v_lshlrev_b64 v[64:65], 4, v[66:67]
	v_mov_b32_e32 v0, v2
	v_fma_f64 v[4:5], v[4:5], 2.0, -v[20:21]
	v_mad_u64_u32 v[2:3], s[2:3], s21, v143, v[0:1]
	v_add_co_u32_e32 v64, vcc, v69, v64
	v_addc_co_u32_e32 v65, vcc, v68, v65, vcc
	global_store_dwordx4 v[64:65], v[56:59], off
	v_lshlrev_b64 v[0:1], 4, v[1:2]
	v_add_u32_e32 v56, 0x1cb, v126
	v_mad_u64_u32 v[2:3], s[2:3], s20, v56, 0
	v_fma_f64 v[62:63], v[76:77], 2.0, -v[42:43]
	v_add_co_u32_e32 v0, vcc, v69, v0
	v_mad_u64_u32 v[56:57], s[2:3], s21, v56, v[3:4]
	v_mad_u64_u32 v[57:58], s[2:3], s20, v142, 0
	v_addc_co_u32_e32 v1, vcc, v68, v1, vcc
	v_mov_b32_e32 v3, v56
	global_store_dwordx4 v[0:1], v[60:63], off
	v_lshlrev_b64 v[0:1], 4, v[2:3]
	v_mov_b32_e32 v2, v58
	v_mad_u64_u32 v[2:3], s[2:3], s21, v142, v[2:3]
	v_add_co_u32_e32 v0, vcc, v69, v0
	v_addc_co_u32_e32 v1, vcc, v68, v1, vcc
	global_store_dwordx4 v[0:1], v[40:43], off
	v_mov_b32_e32 v58, v2
	v_add_u32_e32 v40, 0x1fe, v126
	v_mad_u64_u32 v[2:3], s[2:3], s20, v40, 0
	v_lshlrev_b64 v[0:1], 4, v[57:58]
	v_add_f64 v[36:37], v[8:9], -v[46:47]
	v_mad_u64_u32 v[40:41], s[2:3], s21, v40, v[3:4]
	v_mad_u64_u32 v[41:42], s[2:3], s20, v141, 0
	v_add_co_u32_e32 v0, vcc, v69, v0
	v_addc_co_u32_e32 v1, vcc, v68, v1, vcc
	v_mov_b32_e32 v3, v40
	global_store_dwordx4 v[0:1], v[4:7], off
	v_lshlrev_b64 v[0:1], 4, v[2:3]
	v_mov_b32_e32 v2, v42
	v_mad_u64_u32 v[2:3], s[2:3], s21, v141, v[2:3]
	v_add_u32_e32 v4, 0x231, v126
	v_fma_f64 v[46:47], v[72:73], 2.0, -v[18:19]
	v_mov_b32_e32 v42, v2
	v_mad_u64_u32 v[2:3], s[2:3], s20, v4, 0
	v_add_co_u32_e32 v0, vcc, v69, v0
	v_addc_co_u32_e32 v1, vcc, v68, v1, vcc
	v_mad_u64_u32 v[3:4], s[2:3], s21, v4, v[3:4]
	s_mov_b32 s1, 0xa0a0a0a1
	global_store_dwordx4 v[0:1], v[20:23], off
	v_lshlrev_b64 v[0:1], 4, v[41:42]
	v_mul_hi_u32 v4, v140, s1
	v_add_co_u32_e32 v0, vcc, v69, v0
	v_addc_co_u32_e32 v1, vcc, v68, v1, vcc
	s_movk_i32 s0, 0x198
	global_store_dwordx4 v[0:1], v[44:47], off
	v_lshlrev_b64 v[0:1], 4, v[2:3]
	v_lshrrev_b32_e32 v2, 8, v4
	v_mad_u32_u24 v5, v2, s0, v140
	v_mad_u64_u32 v[2:3], s[2:3], s20, v5, 0
	v_add_u32_e32 v6, 0x198, v5
	v_add_co_u32_e32 v0, vcc, v69, v0
	v_mad_u64_u32 v[3:4], s[2:3], s21, v5, v[3:4]
	v_mad_u64_u32 v[4:5], s[2:3], s20, v6, 0
	v_fma_f64 v[8:9], v[8:9], 2.0, -v[36:37]
	v_addc_co_u32_e32 v1, vcc, v68, v1, vcc
	global_store_dwordx4 v[0:1], v[16:19], off
	v_lshlrev_b64 v[0:1], 4, v[2:3]
	v_mov_b32_e32 v2, v5
	v_mad_u64_u32 v[2:3], s[2:3], s21, v6, v[2:3]
	v_mul_hi_u32 v3, v139, s1
	v_add_co_u32_e32 v0, vcc, v69, v0
	v_addc_co_u32_e32 v1, vcc, v68, v1, vcc
	v_mov_b32_e32 v5, v2
	v_lshrrev_b32_e32 v2, 8, v3
	global_store_dwordx4 v[0:1], v[8:11], off
	v_lshlrev_b64 v[0:1], 4, v[4:5]
	v_mad_u32_u24 v5, v2, s0, v139
	v_mad_u64_u32 v[2:3], s[2:3], s20, v5, 0
	v_add_u32_e32 v6, 0x198, v5
	v_add_co_u32_e32 v0, vcc, v69, v0
	v_mad_u64_u32 v[3:4], s[2:3], s21, v5, v[3:4]
	v_mad_u64_u32 v[4:5], s[2:3], s20, v6, 0
	v_addc_co_u32_e32 v1, vcc, v68, v1, vcc
	global_store_dwordx4 v[0:1], v[36:39], off
	v_lshlrev_b64 v[0:1], 4, v[2:3]
	v_mov_b32_e32 v2, v5
	v_mad_u64_u32 v[2:3], s[2:3], s21, v6, v[2:3]
	v_add_f64 v[28:29], v[12:13], -v[28:29]
	v_add_co_u32_e32 v0, vcc, v69, v0
	v_mov_b32_e32 v5, v2
	v_mad_u64_u32 v[2:3], s[2:3], s20, v138, 0
	v_addc_co_u32_e32 v1, vcc, v68, v1, vcc
	global_store_dwordx4 v[0:1], v[52:55], off
	v_lshlrev_b64 v[0:1], 4, v[4:5]
	v_mad_u64_u32 v[3:4], s[2:3], s21, v138, v[3:4]
	v_add_u32_e32 v6, 0x2ca, v126
	v_mad_u64_u32 v[4:5], s[2:3], s20, v6, 0
	v_add_co_u32_e32 v0, vcc, v69, v0
	v_fma_f64 v[48:49], v[14:15], 2.0, -v[24:25]
	v_fma_f64 v[14:15], v[78:79], 2.0, -v[30:31]
	;; [unrolled: 1-line block ×3, first 2 shown]
	v_addc_co_u32_e32 v1, vcc, v68, v1, vcc
	global_store_dwordx4 v[0:1], v[32:35], off
	v_lshlrev_b64 v[0:1], 4, v[2:3]
	v_mov_b32_e32 v2, v5
	v_mad_u64_u32 v[2:3], s[2:3], s21, v6, v[2:3]
	v_mul_hi_u32 v3, v137, s1
	v_add_co_u32_e32 v0, vcc, v69, v0
	v_addc_co_u32_e32 v1, vcc, v68, v1, vcc
	v_mov_b32_e32 v5, v2
	v_lshrrev_b32_e32 v2, 8, v3
	global_store_dwordx4 v[0:1], v[12:15], off
	v_lshlrev_b64 v[0:1], 4, v[4:5]
	v_mad_u32_u24 v5, v2, s0, v137
	v_mad_u64_u32 v[2:3], s[0:1], s20, v5, 0
	v_add_u32_e32 v6, 0x198, v5
	v_fma_f64 v[50:51], v[80:81], 2.0, -v[26:27]
	v_mad_u64_u32 v[3:4], s[0:1], s21, v5, v[3:4]
	v_mad_u64_u32 v[4:5], s[0:1], s20, v6, 0
	v_add_co_u32_e32 v0, vcc, v69, v0
	v_addc_co_u32_e32 v1, vcc, v68, v1, vcc
	global_store_dwordx4 v[0:1], v[28:31], off
	v_lshlrev_b64 v[0:1], 4, v[2:3]
	v_mov_b32_e32 v2, v5
	v_mad_u64_u32 v[2:3], s[0:1], s21, v6, v[2:3]
	v_add_co_u32_e32 v0, vcc, v69, v0
	v_addc_co_u32_e32 v1, vcc, v68, v1, vcc
	v_mov_b32_e32 v5, v2
	global_store_dwordx4 v[0:1], v[48:51], off
	v_lshlrev_b64 v[0:1], 4, v[4:5]
	v_add_co_u32_e32 v0, vcc, v69, v0
	v_addc_co_u32_e32 v1, vcc, v68, v1, vcc
	global_store_dwordx4 v[0:1], v[24:27], off
.LBB0_25:
	s_endpgm
	.section	.rodata,"a",@progbits
	.p2align	6, 0x0
	.amdhsa_kernel fft_rtc_fwd_len816_factors_17_2_3_2_2_2_wgs_51_tpt_51_halfLds_dp_op_CI_CI_sbrr_dirReg
		.amdhsa_group_segment_fixed_size 0
		.amdhsa_private_segment_fixed_size 0
		.amdhsa_kernarg_size 104
		.amdhsa_user_sgpr_count 6
		.amdhsa_user_sgpr_private_segment_buffer 1
		.amdhsa_user_sgpr_dispatch_ptr 0
		.amdhsa_user_sgpr_queue_ptr 0
		.amdhsa_user_sgpr_kernarg_segment_ptr 1
		.amdhsa_user_sgpr_dispatch_id 0
		.amdhsa_user_sgpr_flat_scratch_init 0
		.amdhsa_user_sgpr_private_segment_size 0
		.amdhsa_uses_dynamic_stack 0
		.amdhsa_system_sgpr_private_segment_wavefront_offset 0
		.amdhsa_system_sgpr_workgroup_id_x 1
		.amdhsa_system_sgpr_workgroup_id_y 0
		.amdhsa_system_sgpr_workgroup_id_z 0
		.amdhsa_system_sgpr_workgroup_info 0
		.amdhsa_system_vgpr_workitem_id 0
		.amdhsa_next_free_vgpr 169
		.amdhsa_next_free_sgpr 60
		.amdhsa_reserve_vcc 1
		.amdhsa_reserve_flat_scratch 0
		.amdhsa_float_round_mode_32 0
		.amdhsa_float_round_mode_16_64 0
		.amdhsa_float_denorm_mode_32 3
		.amdhsa_float_denorm_mode_16_64 3
		.amdhsa_dx10_clamp 1
		.amdhsa_ieee_mode 1
		.amdhsa_fp16_overflow 0
		.amdhsa_exception_fp_ieee_invalid_op 0
		.amdhsa_exception_fp_denorm_src 0
		.amdhsa_exception_fp_ieee_div_zero 0
		.amdhsa_exception_fp_ieee_overflow 0
		.amdhsa_exception_fp_ieee_underflow 0
		.amdhsa_exception_fp_ieee_inexact 0
		.amdhsa_exception_int_div_zero 0
	.end_amdhsa_kernel
	.text
.Lfunc_end0:
	.size	fft_rtc_fwd_len816_factors_17_2_3_2_2_2_wgs_51_tpt_51_halfLds_dp_op_CI_CI_sbrr_dirReg, .Lfunc_end0-fft_rtc_fwd_len816_factors_17_2_3_2_2_2_wgs_51_tpt_51_halfLds_dp_op_CI_CI_sbrr_dirReg
                                        ; -- End function
	.section	.AMDGPU.csdata,"",@progbits
; Kernel info:
; codeLenInByte = 16212
; NumSgprs: 64
; NumVgprs: 169
; ScratchSize: 0
; MemoryBound: 1
; FloatMode: 240
; IeeeMode: 1
; LDSByteSize: 0 bytes/workgroup (compile time only)
; SGPRBlocks: 7
; VGPRBlocks: 42
; NumSGPRsForWavesPerEU: 64
; NumVGPRsForWavesPerEU: 169
; Occupancy: 1
; WaveLimiterHint : 1
; COMPUTE_PGM_RSRC2:SCRATCH_EN: 0
; COMPUTE_PGM_RSRC2:USER_SGPR: 6
; COMPUTE_PGM_RSRC2:TRAP_HANDLER: 0
; COMPUTE_PGM_RSRC2:TGID_X_EN: 1
; COMPUTE_PGM_RSRC2:TGID_Y_EN: 0
; COMPUTE_PGM_RSRC2:TGID_Z_EN: 0
; COMPUTE_PGM_RSRC2:TIDIG_COMP_CNT: 0
	.type	__hip_cuid_9430cd0c2489fad4,@object ; @__hip_cuid_9430cd0c2489fad4
	.section	.bss,"aw",@nobits
	.globl	__hip_cuid_9430cd0c2489fad4
__hip_cuid_9430cd0c2489fad4:
	.byte	0                               ; 0x0
	.size	__hip_cuid_9430cd0c2489fad4, 1

	.ident	"AMD clang version 19.0.0git (https://github.com/RadeonOpenCompute/llvm-project roc-6.4.0 25133 c7fe45cf4b819c5991fe208aaa96edf142730f1d)"
	.section	".note.GNU-stack","",@progbits
	.addrsig
	.addrsig_sym __hip_cuid_9430cd0c2489fad4
	.amdgpu_metadata
---
amdhsa.kernels:
  - .args:
      - .actual_access:  read_only
        .address_space:  global
        .offset:         0
        .size:           8
        .value_kind:     global_buffer
      - .offset:         8
        .size:           8
        .value_kind:     by_value
      - .actual_access:  read_only
        .address_space:  global
        .offset:         16
        .size:           8
        .value_kind:     global_buffer
      - .actual_access:  read_only
        .address_space:  global
        .offset:         24
        .size:           8
        .value_kind:     global_buffer
      - .actual_access:  read_only
        .address_space:  global
        .offset:         32
        .size:           8
        .value_kind:     global_buffer
      - .offset:         40
        .size:           8
        .value_kind:     by_value
      - .actual_access:  read_only
        .address_space:  global
        .offset:         48
        .size:           8
        .value_kind:     global_buffer
      - .actual_access:  read_only
        .address_space:  global
        .offset:         56
        .size:           8
        .value_kind:     global_buffer
      - .offset:         64
        .size:           4
        .value_kind:     by_value
      - .actual_access:  read_only
        .address_space:  global
        .offset:         72
        .size:           8
        .value_kind:     global_buffer
      - .actual_access:  read_only
        .address_space:  global
        .offset:         80
        .size:           8
        .value_kind:     global_buffer
      - .actual_access:  read_only
        .address_space:  global
        .offset:         88
        .size:           8
        .value_kind:     global_buffer
      - .actual_access:  write_only
        .address_space:  global
        .offset:         96
        .size:           8
        .value_kind:     global_buffer
    .group_segment_fixed_size: 0
    .kernarg_segment_align: 8
    .kernarg_segment_size: 104
    .language:       OpenCL C
    .language_version:
      - 2
      - 0
    .max_flat_workgroup_size: 51
    .name:           fft_rtc_fwd_len816_factors_17_2_3_2_2_2_wgs_51_tpt_51_halfLds_dp_op_CI_CI_sbrr_dirReg
    .private_segment_fixed_size: 0
    .sgpr_count:     64
    .sgpr_spill_count: 0
    .symbol:         fft_rtc_fwd_len816_factors_17_2_3_2_2_2_wgs_51_tpt_51_halfLds_dp_op_CI_CI_sbrr_dirReg.kd
    .uniform_work_group_size: 1
    .uses_dynamic_stack: false
    .vgpr_count:     169
    .vgpr_spill_count: 0
    .wavefront_size: 64
amdhsa.target:   amdgcn-amd-amdhsa--gfx906
amdhsa.version:
  - 1
  - 2
...

	.end_amdgpu_metadata
